;; amdgpu-corpus repo=ROCm/hip-tests kind=compiled arch=gfx906 opt=O3
	.amdgcn_target "amdgcn-amd-amdhsa--gfx906"
	.amdhsa_code_object_version 6
	.text
	.p2align	2                               ; -- Begin function __ockl_printf_append_args
	.type	__ockl_printf_append_args,@function
__ockl_printf_append_args:              ; @__ockl_printf_append_args
; %bb.0:
	s_waitcnt vmcnt(0) expcnt(0) lgkmcnt(0)
	s_load_dwordx2 s[6:7], s[8:9], 0x50
	v_mbcnt_lo_u32_b32 v5, -1, 0
	v_mbcnt_hi_u32_b32 v11, -1, v5
	v_readfirstlane_b32 s4, v11
	v_mov_b32_e32 v9, 0
	v_mov_b32_e32 v10, 0
	v_cmp_eq_u32_e64 s[4:5], s4, v11
	s_and_saveexec_b64 s[8:9], s[4:5]
	s_cbranch_execz .LBB0_6
; %bb.1:
	v_mov_b32_e32 v5, 0
	s_waitcnt lgkmcnt(0)
	global_load_dwordx2 v[14:15], v5, s[6:7] offset:24 glc
	s_waitcnt vmcnt(0)
	buffer_wbinvl1_vol
	global_load_dwordx2 v[6:7], v5, s[6:7] offset:40
	global_load_dwordx2 v[8:9], v5, s[6:7]
	s_waitcnt vmcnt(1)
	v_and_b32_e32 v6, v6, v14
	v_and_b32_e32 v7, v7, v15
	v_mul_lo_u32 v7, v7, 24
	v_mul_hi_u32 v10, v6, 24
	v_mul_lo_u32 v6, v6, 24
	v_add_u32_e32 v7, v10, v7
	s_waitcnt vmcnt(0)
	v_add_co_u32_e32 v6, vcc, v8, v6
	v_addc_co_u32_e32 v7, vcc, v9, v7, vcc
	global_load_dwordx2 v[12:13], v[6:7], off glc
	s_waitcnt vmcnt(0)
	global_atomic_cmpswap_x2 v[9:10], v5, v[12:15], s[6:7] offset:24 glc
	s_waitcnt vmcnt(0)
	buffer_wbinvl1_vol
	v_cmp_ne_u64_e32 vcc, v[9:10], v[14:15]
	s_and_saveexec_b64 s[10:11], vcc
	s_cbranch_execz .LBB0_5
; %bb.2:
	s_mov_b64 s[12:13], 0
.LBB0_3:                                ; =>This Inner Loop Header: Depth=1
	s_sleep 1
	global_load_dwordx2 v[6:7], v5, s[6:7] offset:40
	global_load_dwordx2 v[12:13], v5, s[6:7]
	v_mov_b32_e32 v15, v10
	v_mov_b32_e32 v14, v9
	s_waitcnt vmcnt(1)
	v_and_b32_e32 v6, v6, v14
	s_waitcnt vmcnt(0)
	v_mad_u64_u32 v[8:9], s[14:15], v6, 24, v[12:13]
	v_and_b32_e32 v7, v7, v15
	v_mov_b32_e32 v6, v9
	v_mad_u64_u32 v[6:7], s[14:15], v7, 24, v[6:7]
	v_mov_b32_e32 v9, v6
	global_load_dwordx2 v[12:13], v[8:9], off glc
	s_waitcnt vmcnt(0)
	global_atomic_cmpswap_x2 v[9:10], v5, v[12:15], s[6:7] offset:24 glc
	s_waitcnt vmcnt(0)
	buffer_wbinvl1_vol
	v_cmp_eq_u64_e32 vcc, v[9:10], v[14:15]
	s_or_b64 s[12:13], vcc, s[12:13]
	s_andn2_b64 exec, exec, s[12:13]
	s_cbranch_execnz .LBB0_3
; %bb.4:
	s_or_b64 exec, exec, s[12:13]
.LBB0_5:
	s_or_b64 exec, exec, s[10:11]
.LBB0_6:
	s_or_b64 exec, exec, s[8:9]
	v_mov_b32_e32 v14, 0
	s_waitcnt lgkmcnt(0)
	global_load_dwordx2 v[12:13], v14, s[6:7] offset:40
	global_load_dwordx4 v[5:8], v14, s[6:7]
	v_readfirstlane_b32 s9, v10
	v_readfirstlane_b32 s8, v9
	s_mov_b64 s[10:11], exec
	s_waitcnt vmcnt(1)
	v_readfirstlane_b32 s12, v12
	v_readfirstlane_b32 s13, v13
	s_and_b64 s[12:13], s[12:13], s[8:9]
	s_mul_i32 s14, s13, 24
	s_mul_hi_u32 s15, s12, 24
	s_mul_i32 s16, s12, 24
	s_add_i32 s14, s15, s14
	v_mov_b32_e32 v10, s14
	s_waitcnt vmcnt(0)
	v_add_co_u32_e32 v9, vcc, s16, v5
	v_addc_co_u32_e32 v10, vcc, v6, v10, vcc
	s_and_saveexec_b64 s[14:15], s[4:5]
	s_cbranch_execz .LBB0_8
; %bb.7:
	v_mov_b32_e32 v13, s11
	v_mov_b32_e32 v12, s10
	;; [unrolled: 1-line block ×4, first 2 shown]
	global_store_dwordx4 v[9:10], v[12:15], off offset:8
.LBB0_8:
	s_or_b64 exec, exec, s[14:15]
	s_lshl_b64 s[10:11], s[12:13], 12
	v_mov_b32_e32 v12, s11
	v_add_co_u32_e32 v13, vcc, s10, v7
	v_addc_co_u32_e32 v12, vcc, v8, v12, vcc
	v_or_b32_e32 v7, 2, v0
	v_cmp_eq_u32_e32 vcc, 0, v4
	v_cndmask_b32_e32 v0, v7, v0, vcc
	s_movk_i32 s10, 0xff1f
	s_mov_b32 s12, 0
	v_and_or_b32 v0, v0, s10, 32
	v_lshlrev_b32_e32 v4, 6, v11
	v_readfirstlane_b32 s10, v13
	v_readfirstlane_b32 s11, v12
	v_add_co_u32_e32 v7, vcc, v13, v4
	s_mov_b32 s13, s12
	s_mov_b32 s14, s12
	;; [unrolled: 1-line block ×3, first 2 shown]
	s_nop 0
	global_store_dwordx4 v4, v[0:3], s[10:11]
	v_addc_co_u32_e32 v8, vcc, 0, v12, vcc
	v_mov_b32_e32 v0, s12
	v_mov_b32_e32 v1, s13
	;; [unrolled: 1-line block ×4, first 2 shown]
	global_store_dwordx4 v4, v[0:3], s[10:11] offset:16
	global_store_dwordx4 v4, v[0:3], s[10:11] offset:32
	;; [unrolled: 1-line block ×3, first 2 shown]
	s_and_saveexec_b64 s[10:11], s[4:5]
	s_cbranch_execz .LBB0_16
; %bb.9:
	v_mov_b32_e32 v11, 0
	global_load_dwordx2 v[14:15], v11, s[6:7] offset:32 glc
	global_load_dwordx2 v[0:1], v11, s[6:7] offset:40
	v_mov_b32_e32 v12, s8
	v_mov_b32_e32 v13, s9
	s_waitcnt vmcnt(0)
	v_and_b32_e32 v0, s8, v0
	v_and_b32_e32 v1, s9, v1
	v_mul_lo_u32 v1, v1, 24
	v_mul_hi_u32 v2, v0, 24
	v_mul_lo_u32 v0, v0, 24
	v_add_u32_e32 v1, v2, v1
	v_add_co_u32_e32 v4, vcc, v5, v0
	v_addc_co_u32_e32 v5, vcc, v6, v1, vcc
	global_store_dwordx2 v[4:5], v[14:15], off
	s_waitcnt vmcnt(0)
	global_atomic_cmpswap_x2 v[2:3], v11, v[12:15], s[6:7] offset:32 glc
	s_waitcnt vmcnt(0)
	v_cmp_ne_u64_e32 vcc, v[2:3], v[14:15]
	s_and_saveexec_b64 s[12:13], vcc
	s_cbranch_execz .LBB0_12
; %bb.10:
	s_mov_b64 s[14:15], 0
.LBB0_11:                               ; =>This Inner Loop Header: Depth=1
	s_sleep 1
	global_store_dwordx2 v[4:5], v[2:3], off
	v_mov_b32_e32 v0, s8
	v_mov_b32_e32 v1, s9
	s_waitcnt vmcnt(0)
	global_atomic_cmpswap_x2 v[0:1], v11, v[0:3], s[6:7] offset:32 glc
	s_waitcnt vmcnt(0)
	v_cmp_eq_u64_e32 vcc, v[0:1], v[2:3]
	v_mov_b32_e32 v3, v1
	s_or_b64 s[14:15], vcc, s[14:15]
	v_mov_b32_e32 v2, v0
	s_andn2_b64 exec, exec, s[14:15]
	s_cbranch_execnz .LBB0_11
.LBB0_12:
	s_or_b64 exec, exec, s[12:13]
	v_mov_b32_e32 v3, 0
	global_load_dwordx2 v[0:1], v3, s[6:7] offset:16
	s_mov_b64 s[12:13], exec
	v_mbcnt_lo_u32_b32 v2, s12, 0
	v_mbcnt_hi_u32_b32 v2, s13, v2
	v_cmp_eq_u32_e32 vcc, 0, v2
	s_and_saveexec_b64 s[14:15], vcc
	s_cbranch_execz .LBB0_14
; %bb.13:
	s_bcnt1_i32_b64 s12, s[12:13]
	v_mov_b32_e32 v2, s12
	s_waitcnt vmcnt(0)
	global_atomic_add_x2 v[0:1], v[2:3], off offset:8
.LBB0_14:
	s_or_b64 exec, exec, s[14:15]
	s_waitcnt vmcnt(0)
	global_load_dwordx2 v[2:3], v[0:1], off offset:16
	s_waitcnt vmcnt(0)
	v_cmp_eq_u64_e32 vcc, 0, v[2:3]
	s_cbranch_vccnz .LBB0_16
; %bb.15:
	global_load_dword v0, v[0:1], off offset:24
	v_mov_b32_e32 v1, 0
	s_waitcnt vmcnt(0)
	v_readfirstlane_b32 s12, v0
	s_and_b32 m0, s12, 0xffffff
	global_store_dwordx2 v[2:3], v[0:1], off
	s_sendmsg sendmsg(MSG_INTERRUPT)
.LBB0_16:
	s_or_b64 exec, exec, s[10:11]
	s_branch .LBB0_20
.LBB0_17:                               ;   in Loop: Header=BB0_20 Depth=1
	s_or_b64 exec, exec, s[10:11]
	v_readfirstlane_b32 s10, v0
	s_cmp_eq_u32 s10, 0
	s_cbranch_scc1 .LBB0_19
; %bb.18:                               ;   in Loop: Header=BB0_20 Depth=1
	s_sleep 1
	s_cbranch_execnz .LBB0_20
	s_branch .LBB0_22
.LBB0_19:
	s_branch .LBB0_22
.LBB0_20:                               ; =>This Inner Loop Header: Depth=1
	v_mov_b32_e32 v0, 1
	s_and_saveexec_b64 s[10:11], s[4:5]
	s_cbranch_execz .LBB0_17
; %bb.21:                               ;   in Loop: Header=BB0_20 Depth=1
	global_load_dword v0, v[9:10], off offset:20 glc
	s_waitcnt vmcnt(0)
	buffer_wbinvl1_vol
	v_and_b32_e32 v0, 1, v0
	s_branch .LBB0_17
.LBB0_22:
	global_load_dwordx2 v[0:1], v[7:8], off
	s_and_saveexec_b64 s[10:11], s[4:5]
	s_cbranch_execz .LBB0_25
; %bb.23:
	v_mov_b32_e32 v8, 0
	global_load_dwordx2 v[2:3], v8, s[6:7] offset:40
	global_load_dwordx2 v[11:12], v8, s[6:7] offset:24 glc
	global_load_dwordx2 v[4:5], v8, s[6:7]
	s_waitcnt vmcnt(2)
	v_readfirstlane_b32 s12, v2
	v_readfirstlane_b32 s13, v3
	s_add_u32 s14, s12, 1
	s_addc_u32 s15, s13, 0
	s_add_u32 s4, s14, s8
	s_addc_u32 s5, s15, s9
	s_cmp_eq_u64 s[4:5], 0
	s_cselect_b32 s5, s15, s5
	s_cselect_b32 s4, s14, s4
	s_and_b64 s[8:9], s[4:5], s[12:13]
	s_mul_i32 s9, s9, 24
	s_mul_hi_u32 s12, s8, 24
	s_mul_i32 s8, s8, 24
	s_add_i32 s9, s12, s9
	v_mov_b32_e32 v2, s9
	s_waitcnt vmcnt(0)
	v_add_co_u32_e32 v6, vcc, s8, v4
	v_addc_co_u32_e32 v7, vcc, v5, v2, vcc
	v_mov_b32_e32 v9, s4
	global_store_dwordx2 v[6:7], v[11:12], off
	v_mov_b32_e32 v10, s5
	s_waitcnt vmcnt(0)
	global_atomic_cmpswap_x2 v[4:5], v8, v[9:12], s[6:7] offset:24 glc
	s_mov_b64 s[8:9], 0
	s_waitcnt vmcnt(0)
	v_cmp_ne_u64_e32 vcc, v[4:5], v[11:12]
	s_and_b64 exec, exec, vcc
	s_cbranch_execz .LBB0_25
.LBB0_24:                               ; =>This Inner Loop Header: Depth=1
	s_sleep 1
	global_store_dwordx2 v[6:7], v[4:5], off
	v_mov_b32_e32 v2, s4
	v_mov_b32_e32 v3, s5
	s_waitcnt vmcnt(0)
	global_atomic_cmpswap_x2 v[2:3], v8, v[2:5], s[6:7] offset:24 glc
	s_waitcnt vmcnt(0)
	v_cmp_eq_u64_e32 vcc, v[2:3], v[4:5]
	v_mov_b32_e32 v5, v3
	s_or_b64 s[8:9], vcc, s[8:9]
	v_mov_b32_e32 v4, v2
	s_andn2_b64 exec, exec, s[8:9]
	s_cbranch_execnz .LBB0_24
.LBB0_25:
	s_or_b64 exec, exec, s[10:11]
	s_waitcnt vmcnt(0) lgkmcnt(0)
	s_setpc_b64 s[30:31]
.Lfunc_end0:
	.size	__ockl_printf_append_args, .Lfunc_end0-__ockl_printf_append_args
                                        ; -- End function
	.set .L__ockl_printf_append_args.num_vgpr, 16
	.set .L__ockl_printf_append_args.num_agpr, 0
	.set .L__ockl_printf_append_args.numbered_sgpr, 32
	.set .L__ockl_printf_append_args.num_named_barrier, 0
	.set .L__ockl_printf_append_args.private_seg_size, 0
	.set .L__ockl_printf_append_args.uses_vcc, 1
	.set .L__ockl_printf_append_args.uses_flat_scratch, 0
	.set .L__ockl_printf_append_args.has_dyn_sized_stack, 0
	.set .L__ockl_printf_append_args.has_recursion, 0
	.set .L__ockl_printf_append_args.has_indirect_call, 0
	.section	.AMDGPU.csdata,"",@progbits
; Function info:
; codeLenInByte = 1216
; TotalNumSgprs: 36
; NumVgprs: 16
; ScratchSize: 0
; MemoryBound: 0
	.text
	.p2align	2                               ; -- Begin function __ockl_printf_begin
	.type	__ockl_printf_begin,@function
__ockl_printf_begin:                    ; @__ockl_printf_begin
; %bb.0:
	s_waitcnt vmcnt(0) expcnt(0) lgkmcnt(0)
	s_load_dwordx2 s[6:7], s[8:9], 0x50
	v_mbcnt_lo_u32_b32 v0, -1, 0
	v_mbcnt_hi_u32_b32 v9, -1, v0
	v_readfirstlane_b32 s4, v9
	v_mov_b32_e32 v5, 0
	v_mov_b32_e32 v6, 0
	v_cmp_eq_u32_e64 s[4:5], s4, v9
	s_and_saveexec_b64 s[8:9], s[4:5]
	s_cbranch_execz .LBB1_6
; %bb.1:
	v_mov_b32_e32 v0, 0
	s_waitcnt lgkmcnt(0)
	global_load_dwordx2 v[3:4], v0, s[6:7] offset:24 glc
	s_waitcnt vmcnt(0)
	buffer_wbinvl1_vol
	global_load_dwordx2 v[1:2], v0, s[6:7] offset:40
	global_load_dwordx2 v[5:6], v0, s[6:7]
	s_waitcnt vmcnt(1)
	v_and_b32_e32 v1, v1, v3
	v_and_b32_e32 v2, v2, v4
	v_mul_lo_u32 v2, v2, 24
	v_mul_hi_u32 v7, v1, 24
	v_mul_lo_u32 v1, v1, 24
	v_add_u32_e32 v2, v7, v2
	s_waitcnt vmcnt(0)
	v_add_co_u32_e32 v1, vcc, v5, v1
	v_addc_co_u32_e32 v2, vcc, v6, v2, vcc
	global_load_dwordx2 v[1:2], v[1:2], off glc
	s_waitcnt vmcnt(0)
	global_atomic_cmpswap_x2 v[5:6], v0, v[1:4], s[6:7] offset:24 glc
	s_waitcnt vmcnt(0)
	buffer_wbinvl1_vol
	v_cmp_ne_u64_e32 vcc, v[5:6], v[3:4]
	s_and_saveexec_b64 s[10:11], vcc
	s_cbranch_execz .LBB1_5
; %bb.2:
	s_mov_b64 s[12:13], 0
.LBB1_3:                                ; =>This Inner Loop Header: Depth=1
	s_sleep 1
	global_load_dwordx2 v[1:2], v0, s[6:7] offset:40
	global_load_dwordx2 v[7:8], v0, s[6:7]
	v_mov_b32_e32 v3, v5
	v_mov_b32_e32 v4, v6
	s_waitcnt vmcnt(1)
	v_and_b32_e32 v1, v1, v3
	s_waitcnt vmcnt(0)
	v_mad_u64_u32 v[5:6], s[14:15], v1, 24, v[7:8]
	v_and_b32_e32 v2, v2, v4
	v_mov_b32_e32 v1, v6
	v_mad_u64_u32 v[1:2], s[14:15], v2, 24, v[1:2]
	v_mov_b32_e32 v6, v1
	global_load_dwordx2 v[1:2], v[5:6], off glc
	s_waitcnt vmcnt(0)
	global_atomic_cmpswap_x2 v[5:6], v0, v[1:4], s[6:7] offset:24 glc
	s_waitcnt vmcnt(0)
	buffer_wbinvl1_vol
	v_cmp_eq_u64_e32 vcc, v[5:6], v[3:4]
	s_or_b64 s[12:13], vcc, s[12:13]
	s_andn2_b64 exec, exec, s[12:13]
	s_cbranch_execnz .LBB1_3
; %bb.4:
	s_or_b64 exec, exec, s[12:13]
.LBB1_5:
	s_or_b64 exec, exec, s[10:11]
.LBB1_6:
	s_or_b64 exec, exec, s[8:9]
	v_mov_b32_e32 v4, 0
	s_waitcnt lgkmcnt(0)
	global_load_dwordx2 v[7:8], v4, s[6:7] offset:40
	global_load_dwordx4 v[0:3], v4, s[6:7]
	v_readfirstlane_b32 s9, v6
	v_readfirstlane_b32 s8, v5
	s_mov_b64 s[10:11], exec
	s_waitcnt vmcnt(1)
	v_readfirstlane_b32 s12, v7
	v_readfirstlane_b32 s13, v8
	s_and_b64 s[12:13], s[12:13], s[8:9]
	s_mul_i32 s14, s13, 24
	s_mul_hi_u32 s15, s12, 24
	s_mul_i32 s16, s12, 24
	s_add_i32 s14, s15, s14
	v_mov_b32_e32 v5, s14
	s_waitcnt vmcnt(0)
	v_add_co_u32_e32 v7, vcc, s16, v0
	v_addc_co_u32_e32 v8, vcc, v1, v5, vcc
	s_and_saveexec_b64 s[14:15], s[4:5]
	s_cbranch_execz .LBB1_8
; %bb.7:
	v_mov_b32_e32 v10, s10
	v_mov_b32_e32 v11, s11
	;; [unrolled: 1-line block ×4, first 2 shown]
	global_store_dwordx4 v[7:8], v[10:13], off offset:8
.LBB1_8:
	s_or_b64 exec, exec, s[14:15]
	s_lshl_b64 s[10:11], s[12:13], 12
	v_mov_b32_e32 v5, s11
	v_add_co_u32_e32 v2, vcc, s10, v2
	v_addc_co_u32_e32 v11, vcc, v3, v5, vcc
	v_lshlrev_b32_e32 v12, 6, v9
	s_mov_b32 s12, 0
	v_mov_b32_e32 v3, 33
	v_mov_b32_e32 v5, v4
	;; [unrolled: 1-line block ×3, first 2 shown]
	v_readfirstlane_b32 s10, v2
	v_readfirstlane_b32 s11, v11
	v_add_co_u32_e32 v9, vcc, v2, v12
	s_mov_b32 s13, s12
	s_mov_b32 s14, s12
	;; [unrolled: 1-line block ×3, first 2 shown]
	s_nop 0
	global_store_dwordx4 v12, v[3:6], s[10:11]
	v_mov_b32_e32 v2, s12
	v_addc_co_u32_e32 v10, vcc, 0, v11, vcc
	v_mov_b32_e32 v3, s13
	v_mov_b32_e32 v4, s14
	;; [unrolled: 1-line block ×3, first 2 shown]
	global_store_dwordx4 v12, v[2:5], s[10:11] offset:16
	global_store_dwordx4 v12, v[2:5], s[10:11] offset:32
	;; [unrolled: 1-line block ×3, first 2 shown]
	s_and_saveexec_b64 s[10:11], s[4:5]
	s_cbranch_execz .LBB1_16
; %bb.9:
	v_mov_b32_e32 v6, 0
	global_load_dwordx2 v[13:14], v6, s[6:7] offset:32 glc
	global_load_dwordx2 v[2:3], v6, s[6:7] offset:40
	v_mov_b32_e32 v11, s8
	v_mov_b32_e32 v12, s9
	s_waitcnt vmcnt(0)
	v_and_b32_e32 v2, s8, v2
	v_and_b32_e32 v3, s9, v3
	v_mul_lo_u32 v3, v3, 24
	v_mul_hi_u32 v4, v2, 24
	v_mul_lo_u32 v2, v2, 24
	v_add_u32_e32 v3, v4, v3
	v_add_co_u32_e32 v4, vcc, v0, v2
	v_addc_co_u32_e32 v5, vcc, v1, v3, vcc
	global_store_dwordx2 v[4:5], v[13:14], off
	s_waitcnt vmcnt(0)
	global_atomic_cmpswap_x2 v[2:3], v6, v[11:14], s[6:7] offset:32 glc
	s_waitcnt vmcnt(0)
	v_cmp_ne_u64_e32 vcc, v[2:3], v[13:14]
	s_and_saveexec_b64 s[12:13], vcc
	s_cbranch_execz .LBB1_12
; %bb.10:
	s_mov_b64 s[14:15], 0
.LBB1_11:                               ; =>This Inner Loop Header: Depth=1
	s_sleep 1
	global_store_dwordx2 v[4:5], v[2:3], off
	v_mov_b32_e32 v0, s8
	v_mov_b32_e32 v1, s9
	s_waitcnt vmcnt(0)
	global_atomic_cmpswap_x2 v[0:1], v6, v[0:3], s[6:7] offset:32 glc
	s_waitcnt vmcnt(0)
	v_cmp_eq_u64_e32 vcc, v[0:1], v[2:3]
	v_mov_b32_e32 v3, v1
	s_or_b64 s[14:15], vcc, s[14:15]
	v_mov_b32_e32 v2, v0
	s_andn2_b64 exec, exec, s[14:15]
	s_cbranch_execnz .LBB1_11
.LBB1_12:
	s_or_b64 exec, exec, s[12:13]
	v_mov_b32_e32 v3, 0
	global_load_dwordx2 v[0:1], v3, s[6:7] offset:16
	s_mov_b64 s[12:13], exec
	v_mbcnt_lo_u32_b32 v2, s12, 0
	v_mbcnt_hi_u32_b32 v2, s13, v2
	v_cmp_eq_u32_e32 vcc, 0, v2
	s_and_saveexec_b64 s[14:15], vcc
	s_cbranch_execz .LBB1_14
; %bb.13:
	s_bcnt1_i32_b64 s12, s[12:13]
	v_mov_b32_e32 v2, s12
	s_waitcnt vmcnt(0)
	global_atomic_add_x2 v[0:1], v[2:3], off offset:8
.LBB1_14:
	s_or_b64 exec, exec, s[14:15]
	s_waitcnt vmcnt(0)
	global_load_dwordx2 v[2:3], v[0:1], off offset:16
	s_waitcnt vmcnt(0)
	v_cmp_eq_u64_e32 vcc, 0, v[2:3]
	s_cbranch_vccnz .LBB1_16
; %bb.15:
	global_load_dword v0, v[0:1], off offset:24
	v_mov_b32_e32 v1, 0
	s_waitcnt vmcnt(0)
	v_readfirstlane_b32 s12, v0
	s_and_b32 m0, s12, 0xffffff
	global_store_dwordx2 v[2:3], v[0:1], off
	s_sendmsg sendmsg(MSG_INTERRUPT)
.LBB1_16:
	s_or_b64 exec, exec, s[10:11]
	s_branch .LBB1_20
.LBB1_17:                               ;   in Loop: Header=BB1_20 Depth=1
	s_or_b64 exec, exec, s[10:11]
	v_readfirstlane_b32 s10, v0
	s_cmp_eq_u32 s10, 0
	s_cbranch_scc1 .LBB1_19
; %bb.18:                               ;   in Loop: Header=BB1_20 Depth=1
	s_sleep 1
	s_cbranch_execnz .LBB1_20
	s_branch .LBB1_22
.LBB1_19:
	s_branch .LBB1_22
.LBB1_20:                               ; =>This Inner Loop Header: Depth=1
	v_mov_b32_e32 v0, 1
	s_and_saveexec_b64 s[10:11], s[4:5]
	s_cbranch_execz .LBB1_17
; %bb.21:                               ;   in Loop: Header=BB1_20 Depth=1
	global_load_dword v0, v[7:8], off offset:20 glc
	s_waitcnt vmcnt(0)
	buffer_wbinvl1_vol
	v_and_b32_e32 v0, 1, v0
	s_branch .LBB1_17
.LBB1_22:
	global_load_dwordx2 v[0:1], v[9:10], off
	s_and_saveexec_b64 s[10:11], s[4:5]
	s_cbranch_execz .LBB1_25
; %bb.23:
	v_mov_b32_e32 v8, 0
	global_load_dwordx2 v[2:3], v8, s[6:7] offset:40
	global_load_dwordx2 v[11:12], v8, s[6:7] offset:24 glc
	global_load_dwordx2 v[4:5], v8, s[6:7]
	s_waitcnt vmcnt(2)
	v_readfirstlane_b32 s12, v2
	v_readfirstlane_b32 s13, v3
	s_add_u32 s14, s12, 1
	s_addc_u32 s15, s13, 0
	s_add_u32 s4, s14, s8
	s_addc_u32 s5, s15, s9
	s_cmp_eq_u64 s[4:5], 0
	s_cselect_b32 s5, s15, s5
	s_cselect_b32 s4, s14, s4
	s_and_b64 s[8:9], s[4:5], s[12:13]
	s_mul_i32 s9, s9, 24
	s_mul_hi_u32 s12, s8, 24
	s_mul_i32 s8, s8, 24
	s_add_i32 s9, s12, s9
	v_mov_b32_e32 v2, s9
	s_waitcnt vmcnt(0)
	v_add_co_u32_e32 v6, vcc, s8, v4
	v_addc_co_u32_e32 v7, vcc, v5, v2, vcc
	v_mov_b32_e32 v9, s4
	global_store_dwordx2 v[6:7], v[11:12], off
	v_mov_b32_e32 v10, s5
	s_waitcnt vmcnt(0)
	global_atomic_cmpswap_x2 v[4:5], v8, v[9:12], s[6:7] offset:24 glc
	s_mov_b64 s[8:9], 0
	s_waitcnt vmcnt(0)
	v_cmp_ne_u64_e32 vcc, v[4:5], v[11:12]
	s_and_b64 exec, exec, vcc
	s_cbranch_execz .LBB1_25
.LBB1_24:                               ; =>This Inner Loop Header: Depth=1
	s_sleep 1
	global_store_dwordx2 v[6:7], v[4:5], off
	v_mov_b32_e32 v2, s4
	v_mov_b32_e32 v3, s5
	s_waitcnt vmcnt(0)
	global_atomic_cmpswap_x2 v[2:3], v8, v[2:5], s[6:7] offset:24 glc
	s_waitcnt vmcnt(0)
	v_cmp_eq_u64_e32 vcc, v[2:3], v[4:5]
	v_mov_b32_e32 v5, v3
	s_or_b64 s[8:9], vcc, s[8:9]
	v_mov_b32_e32 v4, v2
	s_andn2_b64 exec, exec, s[8:9]
	s_cbranch_execnz .LBB1_24
.LBB1_25:
	s_or_b64 exec, exec, s[10:11]
	s_waitcnt vmcnt(0) lgkmcnt(0)
	s_setpc_b64 s[30:31]
.Lfunc_end1:
	.size	__ockl_printf_begin, .Lfunc_end1-__ockl_printf_begin
                                        ; -- End function
	.set .L__ockl_printf_begin.num_vgpr, 15
	.set .L__ockl_printf_begin.num_agpr, 0
	.set .L__ockl_printf_begin.numbered_sgpr, 32
	.set .L__ockl_printf_begin.num_named_barrier, 0
	.set .L__ockl_printf_begin.private_seg_size, 0
	.set .L__ockl_printf_begin.uses_vcc, 1
	.set .L__ockl_printf_begin.uses_flat_scratch, 0
	.set .L__ockl_printf_begin.has_dyn_sized_stack, 0
	.set .L__ockl_printf_begin.has_recursion, 0
	.set .L__ockl_printf_begin.has_indirect_call, 0
	.section	.AMDGPU.csdata,"",@progbits
; Function info:
; codeLenInByte = 1204
; TotalNumSgprs: 36
; NumVgprs: 15
; ScratchSize: 0
; MemoryBound: 0
	.text
	.p2align	2                               ; -- Begin function __ockl_printf_append_string_n
	.type	__ockl_printf_append_string_n,@function
__ockl_printf_append_string_n:          ; @__ockl_printf_append_string_n
; %bb.0:
	s_waitcnt vmcnt(0) expcnt(0) lgkmcnt(0)
	v_mov_b32_e32 v7, v3
	v_mov_b32_e32 v6, v2
	v_cmp_ne_u64_e32 vcc, 0, v[6:7]
                                        ; kill: def $vgpr1 killed $vgpr1 def $vgpr0
	v_mov_b32_e32 v3, v0
	s_mov_b64 s[6:7], 0
	v_mbcnt_lo_u32_b32 v2, -1, 0
	s_and_saveexec_b64 s[4:5], vcc
	s_xor_b64 s[10:11], exec, s[4:5]
	s_cbranch_execz .LBB2_86
; %bb.1:
	s_load_dwordx2 s[12:13], s[8:9], 0x50
	v_and_b32_e32 v33, 2, v3
	s_mov_b32 s22, 0
	v_mov_b32_e32 v28, 0
	v_and_b32_e32 v0, -3, v3
	v_mbcnt_hi_u32_b32 v34, -1, v2
	s_movk_i32 s23, 0x1e0
	v_mov_b32_e32 v10, 2
	v_mov_b32_e32 v11, 1
	s_branch .LBB2_3
.LBB2_2:                                ;   in Loop: Header=BB2_3 Depth=1
	s_or_b64 exec, exec, s[16:17]
	v_sub_co_u32_e32 v4, vcc, v4, v29
	v_subb_co_u32_e32 v5, vcc, v5, v30, vcc
	v_cmp_eq_u64_e32 vcc, 0, v[4:5]
	s_or_b64 s[6:7], vcc, s[6:7]
	v_add_co_u32_e32 v6, vcc, v6, v29
	v_addc_co_u32_e32 v7, vcc, v7, v30, vcc
	s_andn2_b64 exec, exec, s[6:7]
	s_cbranch_execz .LBB2_85
.LBB2_3:                                ; =>This Loop Header: Depth=1
                                        ;     Child Loop BB2_6 Depth 2
                                        ;     Child Loop BB2_14 Depth 2
	;; [unrolled: 1-line block ×11, first 2 shown]
	v_cmp_gt_u64_e32 vcc, 56, v[4:5]
	v_add_co_u32_e64 v14, s[4:5], 8, v6
	v_cndmask_b32_e32 v30, 0, v5, vcc
	v_cndmask_b32_e32 v29, 56, v4, vcc
	v_cmp_gt_u64_e32 vcc, 8, v[4:5]
	v_addc_co_u32_e64 v15, s[4:5], 0, v7, s[4:5]
	s_and_saveexec_b64 s[4:5], vcc
	s_xor_b64 s[4:5], exec, s[4:5]
	s_cbranch_execz .LBB2_9
; %bb.4:                                ;   in Loop: Header=BB2_3 Depth=1
	v_mov_b32_e32 v2, 0
	v_cmp_ne_u64_e32 vcc, 0, v[4:5]
	v_mov_b32_e32 v3, 0
	s_and_saveexec_b64 s[14:15], vcc
	s_cbranch_execz .LBB2_8
; %bb.5:                                ;   in Loop: Header=BB2_3 Depth=1
	v_lshlrev_b64 v[8:9], 3, v[29:30]
	v_mov_b32_e32 v2, 0
	v_mov_b32_e32 v13, v7
	s_mov_b64 s[16:17], 0
	v_mov_b32_e32 v3, 0
	v_mov_b32_e32 v12, v6
	s_mov_b64 s[18:19], 0
.LBB2_6:                                ;   Parent Loop BB2_3 Depth=1
                                        ; =>  This Inner Loop Header: Depth=2
	flat_load_ubyte v9, v[12:13]
	v_mov_b32_e32 v15, s22
	v_add_co_u32_e32 v12, vcc, 1, v12
	v_addc_co_u32_e32 v13, vcc, 0, v13, vcc
	s_waitcnt vmcnt(0) lgkmcnt(0)
	v_and_b32_e32 v14, 0xffff, v9
	v_lshlrev_b64 v[14:15], s18, v[14:15]
	s_add_u32 s18, s18, 8
	s_addc_u32 s19, s19, 0
	v_cmp_eq_u32_e32 vcc, s18, v8
	v_or_b32_e32 v3, v15, v3
	s_or_b64 s[16:17], vcc, s[16:17]
	v_or_b32_e32 v2, v14, v2
	s_andn2_b64 exec, exec, s[16:17]
	s_cbranch_execnz .LBB2_6
; %bb.7:                                ;   in Loop: Header=BB2_3 Depth=1
	s_or_b64 exec, exec, s[16:17]
.LBB2_8:                                ;   in Loop: Header=BB2_3 Depth=1
	s_or_b64 exec, exec, s[14:15]
	v_mov_b32_e32 v15, v7
	v_mov_b32_e32 v14, v6
.LBB2_9:                                ;   in Loop: Header=BB2_3 Depth=1
	s_or_saveexec_b64 s[4:5], s[4:5]
	v_mov_b32_e32 v16, 0
	s_xor_b64 exec, exec, s[4:5]
	s_cbranch_execz .LBB2_11
; %bb.10:                               ;   in Loop: Header=BB2_3 Depth=1
	flat_load_dwordx2 v[2:3], v[6:7]
	v_add_u32_e32 v16, -8, v29
.LBB2_11:                               ;   in Loop: Header=BB2_3 Depth=1
	s_or_b64 exec, exec, s[4:5]
	v_add_co_u32_e64 v8, s[4:5], 8, v14
	v_cmp_gt_u32_e32 vcc, 8, v16
	v_addc_co_u32_e64 v9, s[4:5], 0, v15, s[4:5]
                                        ; implicit-def: $vgpr12_vgpr13
	s_and_saveexec_b64 s[4:5], vcc
	s_xor_b64 s[4:5], exec, s[4:5]
	s_cbranch_execz .LBB2_17
; %bb.12:                               ;   in Loop: Header=BB2_3 Depth=1
	v_mov_b32_e32 v12, 0
	v_mov_b32_e32 v13, 0
	v_cmp_ne_u32_e32 vcc, 0, v16
	s_and_saveexec_b64 s[14:15], vcc
	s_cbranch_execz .LBB2_16
; %bb.13:                               ;   in Loop: Header=BB2_3 Depth=1
	v_mov_b32_e32 v12, 0
	s_mov_b64 s[16:17], 0
	v_mov_b32_e32 v13, 0
	s_mov_b64 s[18:19], 0
	s_mov_b64 s[20:21], 0
.LBB2_14:                               ;   Parent Loop BB2_3 Depth=1
                                        ; =>  This Inner Loop Header: Depth=2
	v_mov_b32_e32 v9, s21
	v_add_co_u32_e32 v8, vcc, s20, v14
	v_addc_co_u32_e32 v9, vcc, v15, v9, vcc
	flat_load_ubyte v8, v[8:9]
	s_add_u32 s20, s20, 1
	v_mov_b32_e32 v9, s22
	s_addc_u32 s21, s21, 0
	v_cmp_eq_u32_e32 vcc, s20, v16
	s_waitcnt vmcnt(0) lgkmcnt(0)
	v_and_b32_e32 v8, 0xffff, v8
	v_lshlrev_b64 v[8:9], s18, v[8:9]
	s_add_u32 s18, s18, 8
	s_addc_u32 s19, s19, 0
	v_or_b32_e32 v13, v9, v13
	s_or_b64 s[16:17], vcc, s[16:17]
	v_or_b32_e32 v12, v8, v12
	s_andn2_b64 exec, exec, s[16:17]
	s_cbranch_execnz .LBB2_14
; %bb.15:                               ;   in Loop: Header=BB2_3 Depth=1
	s_or_b64 exec, exec, s[16:17]
.LBB2_16:                               ;   in Loop: Header=BB2_3 Depth=1
	s_or_b64 exec, exec, s[14:15]
	v_mov_b32_e32 v8, v14
	v_mov_b32_e32 v9, v15
                                        ; implicit-def: $vgpr16
.LBB2_17:                               ;   in Loop: Header=BB2_3 Depth=1
	s_or_saveexec_b64 s[4:5], s[4:5]
	v_mov_b32_e32 v17, 0
	s_xor_b64 exec, exec, s[4:5]
	s_cbranch_execz .LBB2_19
; %bb.18:                               ;   in Loop: Header=BB2_3 Depth=1
	flat_load_dwordx2 v[12:13], v[14:15]
	v_add_u32_e32 v17, -8, v16
.LBB2_19:                               ;   in Loop: Header=BB2_3 Depth=1
	s_or_b64 exec, exec, s[4:5]
	v_add_co_u32_e64 v18, s[4:5], 8, v8
	v_cmp_gt_u32_e32 vcc, 8, v17
	v_addc_co_u32_e64 v19, s[4:5], 0, v9, s[4:5]
	s_and_saveexec_b64 s[4:5], vcc
	s_xor_b64 s[4:5], exec, s[4:5]
	s_cbranch_execz .LBB2_25
; %bb.20:                               ;   in Loop: Header=BB2_3 Depth=1
	v_mov_b32_e32 v14, 0
	v_mov_b32_e32 v15, 0
	v_cmp_ne_u32_e32 vcc, 0, v17
	s_and_saveexec_b64 s[14:15], vcc
	s_cbranch_execz .LBB2_24
; %bb.21:                               ;   in Loop: Header=BB2_3 Depth=1
	v_mov_b32_e32 v14, 0
	s_mov_b64 s[16:17], 0
	v_mov_b32_e32 v15, 0
	s_mov_b64 s[18:19], 0
	s_mov_b64 s[20:21], 0
.LBB2_22:                               ;   Parent Loop BB2_3 Depth=1
                                        ; =>  This Inner Loop Header: Depth=2
	v_mov_b32_e32 v16, s21
	v_add_co_u32_e32 v18, vcc, s20, v8
	v_addc_co_u32_e32 v19, vcc, v9, v16, vcc
	flat_load_ubyte v16, v[18:19]
	s_add_u32 s20, s20, 1
	v_mov_b32_e32 v19, s22
	s_addc_u32 s21, s21, 0
	v_cmp_eq_u32_e32 vcc, s20, v17
	s_waitcnt vmcnt(0) lgkmcnt(0)
	v_and_b32_e32 v18, 0xffff, v16
	v_lshlrev_b64 v[18:19], s18, v[18:19]
	s_add_u32 s18, s18, 8
	s_addc_u32 s19, s19, 0
	v_or_b32_e32 v15, v19, v15
	s_or_b64 s[16:17], vcc, s[16:17]
	v_or_b32_e32 v14, v18, v14
	s_andn2_b64 exec, exec, s[16:17]
	s_cbranch_execnz .LBB2_22
; %bb.23:                               ;   in Loop: Header=BB2_3 Depth=1
	s_or_b64 exec, exec, s[16:17]
.LBB2_24:                               ;   in Loop: Header=BB2_3 Depth=1
	s_or_b64 exec, exec, s[14:15]
	v_mov_b32_e32 v19, v9
	v_mov_b32_e32 v18, v8
                                        ; implicit-def: $vgpr17
.LBB2_25:                               ;   in Loop: Header=BB2_3 Depth=1
	s_or_saveexec_b64 s[4:5], s[4:5]
	v_mov_b32_e32 v20, 0
	s_xor_b64 exec, exec, s[4:5]
	s_cbranch_execz .LBB2_27
; %bb.26:                               ;   in Loop: Header=BB2_3 Depth=1
	flat_load_dwordx2 v[14:15], v[8:9]
	v_add_u32_e32 v20, -8, v17
.LBB2_27:                               ;   in Loop: Header=BB2_3 Depth=1
	s_or_b64 exec, exec, s[4:5]
	v_add_co_u32_e64 v8, s[4:5], 8, v18
	v_cmp_gt_u32_e32 vcc, 8, v20
	v_addc_co_u32_e64 v9, s[4:5], 0, v19, s[4:5]
                                        ; implicit-def: $vgpr16_vgpr17
	s_and_saveexec_b64 s[4:5], vcc
	s_xor_b64 s[4:5], exec, s[4:5]
	s_cbranch_execz .LBB2_33
; %bb.28:                               ;   in Loop: Header=BB2_3 Depth=1
	v_mov_b32_e32 v16, 0
	v_mov_b32_e32 v17, 0
	v_cmp_ne_u32_e32 vcc, 0, v20
	s_and_saveexec_b64 s[14:15], vcc
	s_cbranch_execz .LBB2_32
; %bb.29:                               ;   in Loop: Header=BB2_3 Depth=1
	v_mov_b32_e32 v16, 0
	s_mov_b64 s[16:17], 0
	v_mov_b32_e32 v17, 0
	s_mov_b64 s[18:19], 0
	s_mov_b64 s[20:21], 0
.LBB2_30:                               ;   Parent Loop BB2_3 Depth=1
                                        ; =>  This Inner Loop Header: Depth=2
	v_mov_b32_e32 v9, s21
	v_add_co_u32_e32 v8, vcc, s20, v18
	v_addc_co_u32_e32 v9, vcc, v19, v9, vcc
	flat_load_ubyte v8, v[8:9]
	s_add_u32 s20, s20, 1
	v_mov_b32_e32 v9, s22
	s_addc_u32 s21, s21, 0
	v_cmp_eq_u32_e32 vcc, s20, v20
	s_waitcnt vmcnt(0) lgkmcnt(0)
	v_and_b32_e32 v8, 0xffff, v8
	v_lshlrev_b64 v[8:9], s18, v[8:9]
	s_add_u32 s18, s18, 8
	s_addc_u32 s19, s19, 0
	v_or_b32_e32 v17, v9, v17
	s_or_b64 s[16:17], vcc, s[16:17]
	v_or_b32_e32 v16, v8, v16
	s_andn2_b64 exec, exec, s[16:17]
	s_cbranch_execnz .LBB2_30
; %bb.31:                               ;   in Loop: Header=BB2_3 Depth=1
	s_or_b64 exec, exec, s[16:17]
.LBB2_32:                               ;   in Loop: Header=BB2_3 Depth=1
	s_or_b64 exec, exec, s[14:15]
	v_mov_b32_e32 v8, v18
	v_mov_b32_e32 v9, v19
                                        ; implicit-def: $vgpr20
.LBB2_33:                               ;   in Loop: Header=BB2_3 Depth=1
	s_or_saveexec_b64 s[4:5], s[4:5]
	v_mov_b32_e32 v21, 0
	s_xor_b64 exec, exec, s[4:5]
	s_cbranch_execz .LBB2_35
; %bb.34:                               ;   in Loop: Header=BB2_3 Depth=1
	flat_load_dwordx2 v[16:17], v[18:19]
	v_add_u32_e32 v21, -8, v20
.LBB2_35:                               ;   in Loop: Header=BB2_3 Depth=1
	s_or_b64 exec, exec, s[4:5]
	v_add_co_u32_e64 v22, s[4:5], 8, v8
	v_cmp_gt_u32_e32 vcc, 8, v21
	v_addc_co_u32_e64 v23, s[4:5], 0, v9, s[4:5]
	s_and_saveexec_b64 s[4:5], vcc
	s_xor_b64 s[4:5], exec, s[4:5]
	s_cbranch_execz .LBB2_41
; %bb.36:                               ;   in Loop: Header=BB2_3 Depth=1
	v_mov_b32_e32 v18, 0
	v_mov_b32_e32 v19, 0
	v_cmp_ne_u32_e32 vcc, 0, v21
	s_and_saveexec_b64 s[14:15], vcc
	s_cbranch_execz .LBB2_40
; %bb.37:                               ;   in Loop: Header=BB2_3 Depth=1
	v_mov_b32_e32 v18, 0
	s_mov_b64 s[16:17], 0
	v_mov_b32_e32 v19, 0
	s_mov_b64 s[18:19], 0
	s_mov_b64 s[20:21], 0
.LBB2_38:                               ;   Parent Loop BB2_3 Depth=1
                                        ; =>  This Inner Loop Header: Depth=2
	v_mov_b32_e32 v20, s21
	v_add_co_u32_e32 v22, vcc, s20, v8
	v_addc_co_u32_e32 v23, vcc, v9, v20, vcc
	flat_load_ubyte v20, v[22:23]
	s_add_u32 s20, s20, 1
	v_mov_b32_e32 v23, s22
	s_addc_u32 s21, s21, 0
	v_cmp_eq_u32_e32 vcc, s20, v21
	s_waitcnt vmcnt(0) lgkmcnt(0)
	v_and_b32_e32 v22, 0xffff, v20
	v_lshlrev_b64 v[22:23], s18, v[22:23]
	s_add_u32 s18, s18, 8
	s_addc_u32 s19, s19, 0
	v_or_b32_e32 v19, v23, v19
	s_or_b64 s[16:17], vcc, s[16:17]
	v_or_b32_e32 v18, v22, v18
	s_andn2_b64 exec, exec, s[16:17]
	s_cbranch_execnz .LBB2_38
; %bb.39:                               ;   in Loop: Header=BB2_3 Depth=1
	s_or_b64 exec, exec, s[16:17]
.LBB2_40:                               ;   in Loop: Header=BB2_3 Depth=1
	s_or_b64 exec, exec, s[14:15]
	v_mov_b32_e32 v23, v9
	v_mov_b32_e32 v22, v8
                                        ; implicit-def: $vgpr21
.LBB2_41:                               ;   in Loop: Header=BB2_3 Depth=1
	s_or_saveexec_b64 s[4:5], s[4:5]
	v_mov_b32_e32 v24, 0
	s_xor_b64 exec, exec, s[4:5]
	s_cbranch_execz .LBB2_43
; %bb.42:                               ;   in Loop: Header=BB2_3 Depth=1
	flat_load_dwordx2 v[18:19], v[8:9]
	v_add_u32_e32 v24, -8, v21
.LBB2_43:                               ;   in Loop: Header=BB2_3 Depth=1
	s_or_b64 exec, exec, s[4:5]
	v_add_co_u32_e64 v8, s[4:5], 8, v22
	v_cmp_gt_u32_e32 vcc, 8, v24
	v_addc_co_u32_e64 v9, s[4:5], 0, v23, s[4:5]
                                        ; implicit-def: $vgpr20_vgpr21
	s_and_saveexec_b64 s[4:5], vcc
	s_xor_b64 s[4:5], exec, s[4:5]
	s_cbranch_execz .LBB2_49
; %bb.44:                               ;   in Loop: Header=BB2_3 Depth=1
	v_mov_b32_e32 v20, 0
	v_mov_b32_e32 v21, 0
	v_cmp_ne_u32_e32 vcc, 0, v24
	s_and_saveexec_b64 s[14:15], vcc
	s_cbranch_execz .LBB2_48
; %bb.45:                               ;   in Loop: Header=BB2_3 Depth=1
	v_mov_b32_e32 v20, 0
	s_mov_b64 s[16:17], 0
	v_mov_b32_e32 v21, 0
	s_mov_b64 s[18:19], 0
	s_mov_b64 s[20:21], 0
.LBB2_46:                               ;   Parent Loop BB2_3 Depth=1
                                        ; =>  This Inner Loop Header: Depth=2
	v_mov_b32_e32 v9, s21
	v_add_co_u32_e32 v8, vcc, s20, v22
	v_addc_co_u32_e32 v9, vcc, v23, v9, vcc
	flat_load_ubyte v8, v[8:9]
	s_add_u32 s20, s20, 1
	v_mov_b32_e32 v9, s22
	s_addc_u32 s21, s21, 0
	v_cmp_eq_u32_e32 vcc, s20, v24
	s_waitcnt vmcnt(0) lgkmcnt(0)
	v_and_b32_e32 v8, 0xffff, v8
	v_lshlrev_b64 v[8:9], s18, v[8:9]
	s_add_u32 s18, s18, 8
	s_addc_u32 s19, s19, 0
	v_or_b32_e32 v21, v9, v21
	s_or_b64 s[16:17], vcc, s[16:17]
	v_or_b32_e32 v20, v8, v20
	s_andn2_b64 exec, exec, s[16:17]
	s_cbranch_execnz .LBB2_46
; %bb.47:                               ;   in Loop: Header=BB2_3 Depth=1
	s_or_b64 exec, exec, s[16:17]
.LBB2_48:                               ;   in Loop: Header=BB2_3 Depth=1
	s_or_b64 exec, exec, s[14:15]
	v_mov_b32_e32 v8, v22
	v_mov_b32_e32 v9, v23
                                        ; implicit-def: $vgpr24
.LBB2_49:                               ;   in Loop: Header=BB2_3 Depth=1
	s_or_saveexec_b64 s[4:5], s[4:5]
	v_mov_b32_e32 v25, 0
	s_xor_b64 exec, exec, s[4:5]
	s_cbranch_execz .LBB2_51
; %bb.50:                               ;   in Loop: Header=BB2_3 Depth=1
	flat_load_dwordx2 v[20:21], v[22:23]
	v_add_u32_e32 v25, -8, v24
.LBB2_51:                               ;   in Loop: Header=BB2_3 Depth=1
	s_or_b64 exec, exec, s[4:5]
	v_cmp_gt_u32_e32 vcc, 8, v25
	s_and_saveexec_b64 s[4:5], vcc
	s_xor_b64 s[4:5], exec, s[4:5]
	s_cbranch_execz .LBB2_57
; %bb.52:                               ;   in Loop: Header=BB2_3 Depth=1
	v_mov_b32_e32 v22, 0
	v_mov_b32_e32 v23, 0
	v_cmp_ne_u32_e32 vcc, 0, v25
	s_and_saveexec_b64 s[14:15], vcc
	s_cbranch_execz .LBB2_56
; %bb.53:                               ;   in Loop: Header=BB2_3 Depth=1
	v_mov_b32_e32 v22, 0
	s_mov_b64 s[16:17], 0
	v_mov_b32_e32 v23, 0
	s_mov_b64 s[18:19], 0
.LBB2_54:                               ;   Parent Loop BB2_3 Depth=1
                                        ; =>  This Inner Loop Header: Depth=2
	flat_load_ubyte v24, v[8:9]
	v_mov_b32_e32 v27, s22
	v_add_co_u32_e32 v8, vcc, 1, v8
	v_add_u32_e32 v25, -1, v25
	v_addc_co_u32_e32 v9, vcc, 0, v9, vcc
	v_cmp_eq_u32_e32 vcc, 0, v25
	s_waitcnt vmcnt(0) lgkmcnt(0)
	v_and_b32_e32 v26, 0xffff, v24
	v_lshlrev_b64 v[26:27], s18, v[26:27]
	s_add_u32 s18, s18, 8
	s_addc_u32 s19, s19, 0
	v_or_b32_e32 v23, v27, v23
	s_or_b64 s[16:17], vcc, s[16:17]
	v_or_b32_e32 v22, v26, v22
	s_andn2_b64 exec, exec, s[16:17]
	s_cbranch_execnz .LBB2_54
; %bb.55:                               ;   in Loop: Header=BB2_3 Depth=1
	s_or_b64 exec, exec, s[16:17]
.LBB2_56:                               ;   in Loop: Header=BB2_3 Depth=1
	s_or_b64 exec, exec, s[14:15]
                                        ; implicit-def: $vgpr8_vgpr9
.LBB2_57:                               ;   in Loop: Header=BB2_3 Depth=1
	s_andn2_saveexec_b64 s[4:5], s[4:5]
	s_cbranch_execz .LBB2_59
; %bb.58:                               ;   in Loop: Header=BB2_3 Depth=1
	flat_load_dwordx2 v[22:23], v[8:9]
.LBB2_59:                               ;   in Loop: Header=BB2_3 Depth=1
	s_or_b64 exec, exec, s[4:5]
	v_readfirstlane_b32 s4, v34
	v_mov_b32_e32 v8, 0
	v_mov_b32_e32 v9, 0
	v_cmp_eq_u32_e64 s[4:5], s4, v34
	s_and_saveexec_b64 s[14:15], s[4:5]
	s_cbranch_execz .LBB2_65
; %bb.60:                               ;   in Loop: Header=BB2_3 Depth=1
	s_waitcnt lgkmcnt(0)
	global_load_dwordx2 v[26:27], v28, s[12:13] offset:24 glc
	s_waitcnt vmcnt(0)
	buffer_wbinvl1_vol
	global_load_dwordx2 v[8:9], v28, s[12:13] offset:40
	global_load_dwordx2 v[24:25], v28, s[12:13]
	s_waitcnt vmcnt(1)
	v_and_b32_e32 v8, v8, v26
	v_and_b32_e32 v9, v9, v27
	v_mul_lo_u32 v9, v9, 24
	v_mul_hi_u32 v31, v8, 24
	v_mul_lo_u32 v8, v8, 24
	v_add_u32_e32 v9, v31, v9
	s_waitcnt vmcnt(0)
	v_add_co_u32_e32 v8, vcc, v24, v8
	v_addc_co_u32_e32 v9, vcc, v25, v9, vcc
	global_load_dwordx2 v[24:25], v[8:9], off glc
	s_waitcnt vmcnt(0)
	global_atomic_cmpswap_x2 v[8:9], v28, v[24:27], s[12:13] offset:24 glc
	s_waitcnt vmcnt(0)
	buffer_wbinvl1_vol
	v_cmp_ne_u64_e32 vcc, v[8:9], v[26:27]
	s_and_saveexec_b64 s[16:17], vcc
	s_cbranch_execz .LBB2_64
; %bb.61:                               ;   in Loop: Header=BB2_3 Depth=1
	s_mov_b64 s[18:19], 0
.LBB2_62:                               ;   Parent Loop BB2_3 Depth=1
                                        ; =>  This Inner Loop Header: Depth=2
	s_sleep 1
	global_load_dwordx2 v[24:25], v28, s[12:13] offset:40
	global_load_dwordx2 v[31:32], v28, s[12:13]
	v_mov_b32_e32 v27, v9
	v_mov_b32_e32 v26, v8
	s_waitcnt vmcnt(1)
	v_and_b32_e32 v8, v24, v26
	s_waitcnt vmcnt(0)
	v_mad_u64_u32 v[8:9], s[20:21], v8, 24, v[31:32]
	v_and_b32_e32 v24, v25, v27
	v_mad_u64_u32 v[24:25], s[20:21], v24, 24, v[9:10]
	v_mov_b32_e32 v9, v24
	global_load_dwordx2 v[24:25], v[8:9], off glc
	s_waitcnt vmcnt(0)
	global_atomic_cmpswap_x2 v[8:9], v28, v[24:27], s[12:13] offset:24 glc
	s_waitcnt vmcnt(0)
	buffer_wbinvl1_vol
	v_cmp_eq_u64_e32 vcc, v[8:9], v[26:27]
	s_or_b64 s[18:19], vcc, s[18:19]
	s_andn2_b64 exec, exec, s[18:19]
	s_cbranch_execnz .LBB2_62
; %bb.63:                               ;   in Loop: Header=BB2_3 Depth=1
	s_or_b64 exec, exec, s[18:19]
.LBB2_64:                               ;   in Loop: Header=BB2_3 Depth=1
	s_or_b64 exec, exec, s[16:17]
.LBB2_65:                               ;   in Loop: Header=BB2_3 Depth=1
	s_or_b64 exec, exec, s[14:15]
	s_waitcnt lgkmcnt(0)
	global_load_dwordx2 v[31:32], v28, s[12:13] offset:40
	global_load_dwordx4 v[24:27], v28, s[12:13]
	v_readfirstlane_b32 s15, v9
	v_readfirstlane_b32 s14, v8
	s_mov_b64 s[16:17], exec
	s_waitcnt vmcnt(0)
	v_readfirstlane_b32 s18, v31
	v_readfirstlane_b32 s19, v32
	s_and_b64 s[18:19], s[18:19], s[14:15]
	s_mul_i32 s20, s19, 24
	s_mul_hi_u32 s21, s18, 24
	s_mul_i32 s24, s18, 24
	s_add_i32 s20, s21, s20
	v_mov_b32_e32 v8, s20
	v_add_co_u32_e32 v31, vcc, s24, v24
	v_addc_co_u32_e32 v32, vcc, v25, v8, vcc
	s_and_saveexec_b64 s[20:21], s[4:5]
	s_cbranch_execz .LBB2_67
; %bb.66:                               ;   in Loop: Header=BB2_3 Depth=1
	v_mov_b32_e32 v8, s16
	v_mov_b32_e32 v9, s17
	global_store_dwordx4 v[31:32], v[8:11], off offset:8
.LBB2_67:                               ;   in Loop: Header=BB2_3 Depth=1
	s_or_b64 exec, exec, s[20:21]
	s_lshl_b64 s[16:17], s[18:19], 12
	v_mov_b32_e32 v8, s17
	v_add_co_u32_e32 v26, vcc, s16, v26
	v_addc_co_u32_e32 v35, vcc, v27, v8, vcc
	v_cmp_gt_u64_e32 vcc, 57, v[4:5]
	v_and_b32_e32 v0, 0xffffff1f, v0
	v_cndmask_b32_e32 v8, 0, v33, vcc
	v_lshl_add_u32 v9, v29, 2, 28
	v_or_b32_e32 v0, v0, v8
	v_and_or_b32 v0, v9, s23, v0
	v_lshlrev_b32_e32 v36, 6, v34
	v_readfirstlane_b32 s16, v26
	v_readfirstlane_b32 s17, v35
	s_nop 4
	global_store_dwordx4 v36, v[0:3], s[16:17]
	global_store_dwordx4 v36, v[12:15], s[16:17] offset:16
	global_store_dwordx4 v36, v[16:19], s[16:17] offset:32
	;; [unrolled: 1-line block ×3, first 2 shown]
	s_and_saveexec_b64 s[16:17], s[4:5]
	s_cbranch_execz .LBB2_75
; %bb.68:                               ;   in Loop: Header=BB2_3 Depth=1
	global_load_dwordx2 v[14:15], v28, s[12:13] offset:32 glc
	global_load_dwordx2 v[0:1], v28, s[12:13] offset:40
	v_mov_b32_e32 v12, s14
	v_mov_b32_e32 v13, s15
	s_waitcnt vmcnt(0)
	v_readfirstlane_b32 s18, v0
	v_readfirstlane_b32 s19, v1
	s_and_b64 s[18:19], s[18:19], s[14:15]
	s_mul_i32 s19, s19, 24
	s_mul_hi_u32 s20, s18, 24
	s_mul_i32 s18, s18, 24
	s_add_i32 s19, s20, s19
	v_mov_b32_e32 v0, s19
	v_add_co_u32_e32 v8, vcc, s18, v24
	v_addc_co_u32_e32 v9, vcc, v25, v0, vcc
	global_store_dwordx2 v[8:9], v[14:15], off
	s_waitcnt vmcnt(0)
	global_atomic_cmpswap_x2 v[2:3], v28, v[12:15], s[12:13] offset:32 glc
	s_waitcnt vmcnt(0)
	v_cmp_ne_u64_e32 vcc, v[2:3], v[14:15]
	s_and_saveexec_b64 s[18:19], vcc
	s_cbranch_execz .LBB2_71
; %bb.69:                               ;   in Loop: Header=BB2_3 Depth=1
	s_mov_b64 s[20:21], 0
.LBB2_70:                               ;   Parent Loop BB2_3 Depth=1
                                        ; =>  This Inner Loop Header: Depth=2
	s_sleep 1
	global_store_dwordx2 v[8:9], v[2:3], off
	v_mov_b32_e32 v0, s14
	v_mov_b32_e32 v1, s15
	s_waitcnt vmcnt(0)
	global_atomic_cmpswap_x2 v[0:1], v28, v[0:3], s[12:13] offset:32 glc
	s_waitcnt vmcnt(0)
	v_cmp_eq_u64_e32 vcc, v[0:1], v[2:3]
	v_mov_b32_e32 v3, v1
	s_or_b64 s[20:21], vcc, s[20:21]
	v_mov_b32_e32 v2, v0
	s_andn2_b64 exec, exec, s[20:21]
	s_cbranch_execnz .LBB2_70
.LBB2_71:                               ;   in Loop: Header=BB2_3 Depth=1
	s_or_b64 exec, exec, s[18:19]
	global_load_dwordx2 v[0:1], v28, s[12:13] offset:16
	s_mov_b64 s[20:21], exec
	v_mbcnt_lo_u32_b32 v2, s20, 0
	v_mbcnt_hi_u32_b32 v2, s21, v2
	v_cmp_eq_u32_e32 vcc, 0, v2
	s_and_saveexec_b64 s[18:19], vcc
	s_cbranch_execz .LBB2_73
; %bb.72:                               ;   in Loop: Header=BB2_3 Depth=1
	s_bcnt1_i32_b64 s20, s[20:21]
	v_mov_b32_e32 v27, s20
	s_waitcnt vmcnt(0)
	global_atomic_add_x2 v[0:1], v[27:28], off offset:8
.LBB2_73:                               ;   in Loop: Header=BB2_3 Depth=1
	s_or_b64 exec, exec, s[18:19]
	s_waitcnt vmcnt(0)
	global_load_dwordx2 v[2:3], v[0:1], off offset:16
	s_waitcnt vmcnt(0)
	v_cmp_eq_u64_e32 vcc, 0, v[2:3]
	s_cbranch_vccnz .LBB2_75
; %bb.74:                               ;   in Loop: Header=BB2_3 Depth=1
	global_load_dword v27, v[0:1], off offset:24
	s_waitcnt vmcnt(0)
	v_readfirstlane_b32 s18, v27
	s_and_b32 m0, s18, 0xffffff
	global_store_dwordx2 v[2:3], v[27:28], off
	s_sendmsg sendmsg(MSG_INTERRUPT)
.LBB2_75:                               ;   in Loop: Header=BB2_3 Depth=1
	s_or_b64 exec, exec, s[16:17]
	v_add_co_u32_e32 v0, vcc, v26, v36
	v_addc_co_u32_e32 v1, vcc, 0, v35, vcc
	s_branch .LBB2_79
.LBB2_76:                               ;   in Loop: Header=BB2_79 Depth=2
	s_or_b64 exec, exec, s[16:17]
	v_readfirstlane_b32 s16, v2
	s_cmp_eq_u32 s16, 0
	s_cbranch_scc1 .LBB2_78
; %bb.77:                               ;   in Loop: Header=BB2_79 Depth=2
	s_sleep 1
	s_cbranch_execnz .LBB2_79
	s_branch .LBB2_81
.LBB2_78:                               ;   in Loop: Header=BB2_3 Depth=1
	s_branch .LBB2_81
.LBB2_79:                               ;   Parent Loop BB2_3 Depth=1
                                        ; =>  This Inner Loop Header: Depth=2
	v_mov_b32_e32 v2, 1
	s_and_saveexec_b64 s[16:17], s[4:5]
	s_cbranch_execz .LBB2_76
; %bb.80:                               ;   in Loop: Header=BB2_79 Depth=2
	global_load_dword v2, v[31:32], off offset:20 glc
	s_waitcnt vmcnt(0)
	buffer_wbinvl1_vol
	v_and_b32_e32 v2, 1, v2
	s_branch .LBB2_76
.LBB2_81:                               ;   in Loop: Header=BB2_3 Depth=1
	global_load_dwordx2 v[0:1], v[0:1], off
	s_and_saveexec_b64 s[16:17], s[4:5]
	s_cbranch_execz .LBB2_2
; %bb.82:                               ;   in Loop: Header=BB2_3 Depth=1
	global_load_dwordx2 v[2:3], v28, s[12:13] offset:40
	global_load_dwordx2 v[16:17], v28, s[12:13] offset:24 glc
	global_load_dwordx2 v[8:9], v28, s[12:13]
	s_waitcnt vmcnt(2)
	v_readfirstlane_b32 s18, v2
	v_readfirstlane_b32 s19, v3
	s_add_u32 s20, s18, 1
	s_addc_u32 s21, s19, 0
	s_add_u32 s4, s20, s14
	s_addc_u32 s5, s21, s15
	s_cmp_eq_u64 s[4:5], 0
	s_cselect_b32 s5, s21, s5
	s_cselect_b32 s4, s20, s4
	s_and_b64 s[14:15], s[4:5], s[18:19]
	s_mul_i32 s15, s15, 24
	s_mul_hi_u32 s18, s14, 24
	s_mul_i32 s14, s14, 24
	s_add_i32 s15, s18, s15
	v_mov_b32_e32 v3, s15
	s_waitcnt vmcnt(0)
	v_add_co_u32_e32 v2, vcc, s14, v8
	v_addc_co_u32_e32 v3, vcc, v9, v3, vcc
	v_mov_b32_e32 v14, s4
	global_store_dwordx2 v[2:3], v[16:17], off
	v_mov_b32_e32 v15, s5
	s_waitcnt vmcnt(0)
	global_atomic_cmpswap_x2 v[14:15], v28, v[14:17], s[12:13] offset:24 glc
	s_waitcnt vmcnt(0)
	v_cmp_ne_u64_e32 vcc, v[14:15], v[16:17]
	s_and_b64 exec, exec, vcc
	s_cbranch_execz .LBB2_2
; %bb.83:                               ;   in Loop: Header=BB2_3 Depth=1
	s_mov_b64 s[14:15], 0
.LBB2_84:                               ;   Parent Loop BB2_3 Depth=1
                                        ; =>  This Inner Loop Header: Depth=2
	s_sleep 1
	global_store_dwordx2 v[2:3], v[14:15], off
	v_mov_b32_e32 v12, s4
	v_mov_b32_e32 v13, s5
	s_waitcnt vmcnt(0)
	global_atomic_cmpswap_x2 v[8:9], v28, v[12:15], s[12:13] offset:24 glc
	s_waitcnt vmcnt(0)
	v_cmp_eq_u64_e32 vcc, v[8:9], v[14:15]
	v_mov_b32_e32 v15, v9
	s_or_b64 s[14:15], vcc, s[14:15]
	v_mov_b32_e32 v14, v8
	s_andn2_b64 exec, exec, s[14:15]
	s_cbranch_execnz .LBB2_84
	s_branch .LBB2_2
.LBB2_85:
	s_or_b64 exec, exec, s[6:7]
                                        ; implicit-def: $vgpr3
                                        ; implicit-def: $vgpr2
.LBB2_86:
	s_andn2_saveexec_b64 s[6:7], s[10:11]
	s_cbranch_execz .LBB2_109
; %bb.87:
	s_load_dwordx2 s[8:9], s[8:9], 0x50
	v_mbcnt_hi_u32_b32 v10, -1, v2
	v_readfirstlane_b32 s4, v10
	v_mov_b32_e32 v8, 0
	v_mov_b32_e32 v9, 0
	v_cmp_eq_u32_e64 s[4:5], s4, v10
	s_and_saveexec_b64 s[10:11], s[4:5]
	s_cbranch_execz .LBB2_93
; %bb.88:
	s_waitcnt vmcnt(0)
	v_mov_b32_e32 v0, 0
	s_waitcnt lgkmcnt(0)
	global_load_dwordx2 v[6:7], v0, s[8:9] offset:24 glc
	s_waitcnt vmcnt(0)
	buffer_wbinvl1_vol
	global_load_dwordx2 v[4:5], v0, s[8:9] offset:40
	global_load_dwordx2 v[8:9], v0, s[8:9]
	s_waitcnt vmcnt(1)
	v_and_b32_e32 v2, v4, v6
	v_and_b32_e32 v4, v5, v7
	v_mul_lo_u32 v4, v4, 24
	v_mul_hi_u32 v5, v2, 24
	v_mul_lo_u32 v2, v2, 24
	v_add_u32_e32 v5, v5, v4
	s_waitcnt vmcnt(0)
	v_add_co_u32_e32 v4, vcc, v8, v2
	v_addc_co_u32_e32 v5, vcc, v9, v5, vcc
	global_load_dwordx2 v[4:5], v[4:5], off glc
	s_waitcnt vmcnt(0)
	global_atomic_cmpswap_x2 v[8:9], v0, v[4:7], s[8:9] offset:24 glc
	s_waitcnt vmcnt(0)
	buffer_wbinvl1_vol
	v_cmp_ne_u64_e32 vcc, v[8:9], v[6:7]
	s_and_saveexec_b64 s[12:13], vcc
	s_cbranch_execz .LBB2_92
; %bb.89:
	s_mov_b64 s[14:15], 0
.LBB2_90:                               ; =>This Inner Loop Header: Depth=1
	s_sleep 1
	global_load_dwordx2 v[4:5], v0, s[8:9] offset:40
	global_load_dwordx2 v[11:12], v0, s[8:9]
	v_mov_b32_e32 v6, v8
	v_mov_b32_e32 v7, v9
	s_waitcnt vmcnt(1)
	v_and_b32_e32 v2, v4, v6
	s_waitcnt vmcnt(0)
	v_mad_u64_u32 v[8:9], s[16:17], v2, 24, v[11:12]
	v_and_b32_e32 v4, v5, v7
	v_mov_b32_e32 v2, v9
	v_mad_u64_u32 v[4:5], s[16:17], v4, 24, v[2:3]
	v_mov_b32_e32 v9, v4
	global_load_dwordx2 v[4:5], v[8:9], off glc
	s_waitcnt vmcnt(0)
	global_atomic_cmpswap_x2 v[8:9], v0, v[4:7], s[8:9] offset:24 glc
	s_waitcnt vmcnt(0)
	buffer_wbinvl1_vol
	v_cmp_eq_u64_e32 vcc, v[8:9], v[6:7]
	s_or_b64 s[14:15], vcc, s[14:15]
	s_andn2_b64 exec, exec, s[14:15]
	s_cbranch_execnz .LBB2_90
; %bb.91:
	s_or_b64 exec, exec, s[14:15]
.LBB2_92:
	s_or_b64 exec, exec, s[12:13]
.LBB2_93:
	s_or_b64 exec, exec, s[10:11]
	v_mov_b32_e32 v2, 0
	s_waitcnt lgkmcnt(0)
	global_load_dwordx2 v[11:12], v2, s[8:9] offset:40
	global_load_dwordx4 v[4:7], v2, s[8:9]
	v_readfirstlane_b32 s11, v9
	v_readfirstlane_b32 s10, v8
	s_mov_b64 s[12:13], exec
	s_waitcnt vmcnt(1)
	v_readfirstlane_b32 s14, v11
	v_readfirstlane_b32 s15, v12
	s_and_b64 s[14:15], s[14:15], s[10:11]
	s_mul_i32 s16, s15, 24
	s_mul_hi_u32 s17, s14, 24
	s_mul_i32 s18, s14, 24
	s_add_i32 s16, s17, s16
	v_mov_b32_e32 v0, s16
	s_waitcnt vmcnt(0)
	v_add_co_u32_e32 v8, vcc, s18, v4
	v_addc_co_u32_e32 v9, vcc, v5, v0, vcc
	s_and_saveexec_b64 s[16:17], s[4:5]
	s_cbranch_execz .LBB2_95
; %bb.94:
	v_mov_b32_e32 v11, s12
	v_mov_b32_e32 v12, s13
	;; [unrolled: 1-line block ×4, first 2 shown]
	global_store_dwordx4 v[8:9], v[11:14], off offset:8
.LBB2_95:
	s_or_b64 exec, exec, s[16:17]
	s_lshl_b64 s[12:13], s[14:15], 12
	v_mov_b32_e32 v0, s13
	v_add_co_u32_e32 v11, vcc, s12, v6
	v_addc_co_u32_e32 v12, vcc, v7, v0, vcc
	s_movk_i32 s12, 0xff1f
	v_and_or_b32 v0, v3, s12, 32
	v_lshlrev_b32_e32 v10, 6, v10
	s_mov_b32 s12, 0
	v_mov_b32_e32 v3, v2
	v_readfirstlane_b32 s16, v11
	v_readfirstlane_b32 s17, v12
	v_add_co_u32_e32 v6, vcc, v11, v10
	s_mov_b32 s13, s12
	s_mov_b32 s14, s12
	;; [unrolled: 1-line block ×3, first 2 shown]
	s_nop 0
	global_store_dwordx4 v10, v[0:3], s[16:17]
	v_addc_co_u32_e32 v7, vcc, 0, v12, vcc
	v_mov_b32_e32 v0, s12
	v_mov_b32_e32 v1, s13
	;; [unrolled: 1-line block ×4, first 2 shown]
	global_store_dwordx4 v10, v[0:3], s[16:17] offset:16
	global_store_dwordx4 v10, v[0:3], s[16:17] offset:32
	;; [unrolled: 1-line block ×3, first 2 shown]
	s_and_saveexec_b64 s[12:13], s[4:5]
	s_cbranch_execz .LBB2_103
; %bb.96:
	v_mov_b32_e32 v10, 0
	global_load_dwordx2 v[13:14], v10, s[8:9] offset:32 glc
	global_load_dwordx2 v[0:1], v10, s[8:9] offset:40
	v_mov_b32_e32 v11, s10
	v_mov_b32_e32 v12, s11
	s_waitcnt vmcnt(0)
	v_and_b32_e32 v0, s10, v0
	v_and_b32_e32 v1, s11, v1
	v_mul_lo_u32 v1, v1, 24
	v_mul_hi_u32 v2, v0, 24
	v_mul_lo_u32 v0, v0, 24
	v_add_u32_e32 v1, v2, v1
	v_add_co_u32_e32 v4, vcc, v4, v0
	v_addc_co_u32_e32 v5, vcc, v5, v1, vcc
	global_store_dwordx2 v[4:5], v[13:14], off
	s_waitcnt vmcnt(0)
	global_atomic_cmpswap_x2 v[2:3], v10, v[11:14], s[8:9] offset:32 glc
	s_waitcnt vmcnt(0)
	v_cmp_ne_u64_e32 vcc, v[2:3], v[13:14]
	s_and_saveexec_b64 s[14:15], vcc
	s_cbranch_execz .LBB2_99
; %bb.97:
	s_mov_b64 s[16:17], 0
.LBB2_98:                               ; =>This Inner Loop Header: Depth=1
	s_sleep 1
	global_store_dwordx2 v[4:5], v[2:3], off
	v_mov_b32_e32 v0, s10
	v_mov_b32_e32 v1, s11
	s_waitcnt vmcnt(0)
	global_atomic_cmpswap_x2 v[0:1], v10, v[0:3], s[8:9] offset:32 glc
	s_waitcnt vmcnt(0)
	v_cmp_eq_u64_e32 vcc, v[0:1], v[2:3]
	v_mov_b32_e32 v3, v1
	s_or_b64 s[16:17], vcc, s[16:17]
	v_mov_b32_e32 v2, v0
	s_andn2_b64 exec, exec, s[16:17]
	s_cbranch_execnz .LBB2_98
.LBB2_99:
	s_or_b64 exec, exec, s[14:15]
	v_mov_b32_e32 v3, 0
	global_load_dwordx2 v[0:1], v3, s[8:9] offset:16
	s_mov_b64 s[14:15], exec
	v_mbcnt_lo_u32_b32 v2, s14, 0
	v_mbcnt_hi_u32_b32 v2, s15, v2
	v_cmp_eq_u32_e32 vcc, 0, v2
	s_and_saveexec_b64 s[16:17], vcc
	s_cbranch_execz .LBB2_101
; %bb.100:
	s_bcnt1_i32_b64 s14, s[14:15]
	v_mov_b32_e32 v2, s14
	s_waitcnt vmcnt(0)
	global_atomic_add_x2 v[0:1], v[2:3], off offset:8
.LBB2_101:
	s_or_b64 exec, exec, s[16:17]
	s_waitcnt vmcnt(0)
	global_load_dwordx2 v[2:3], v[0:1], off offset:16
	s_waitcnt vmcnt(0)
	v_cmp_eq_u64_e32 vcc, 0, v[2:3]
	s_cbranch_vccnz .LBB2_103
; %bb.102:
	global_load_dword v0, v[0:1], off offset:24
	v_mov_b32_e32 v1, 0
	s_waitcnt vmcnt(0)
	v_readfirstlane_b32 s14, v0
	s_and_b32 m0, s14, 0xffffff
	global_store_dwordx2 v[2:3], v[0:1], off
	s_sendmsg sendmsg(MSG_INTERRUPT)
.LBB2_103:
	s_or_b64 exec, exec, s[12:13]
	s_branch .LBB2_107
.LBB2_104:                              ;   in Loop: Header=BB2_107 Depth=1
	s_or_b64 exec, exec, s[12:13]
	v_readfirstlane_b32 s12, v0
	s_cmp_eq_u32 s12, 0
	s_cbranch_scc1 .LBB2_106
; %bb.105:                              ;   in Loop: Header=BB2_107 Depth=1
	s_sleep 1
	s_cbranch_execnz .LBB2_107
	s_branch .LBB2_110
.LBB2_106:
	s_branch .LBB2_110
.LBB2_107:                              ; =>This Inner Loop Header: Depth=1
	v_mov_b32_e32 v0, 1
	s_and_saveexec_b64 s[12:13], s[4:5]
	s_cbranch_execz .LBB2_104
; %bb.108:                              ;   in Loop: Header=BB2_107 Depth=1
	global_load_dword v0, v[8:9], off offset:20 glc
	s_waitcnt vmcnt(0)
	buffer_wbinvl1_vol
	v_and_b32_e32 v0, 1, v0
	s_branch .LBB2_104
.LBB2_109:
	s_or_b64 exec, exec, s[6:7]
	s_waitcnt vmcnt(0) lgkmcnt(0)
	s_setpc_b64 s[30:31]
.LBB2_110:
	global_load_dwordx2 v[0:1], v[6:7], off
	s_and_saveexec_b64 s[12:13], s[4:5]
	s_cbranch_execz .LBB2_113
; %bb.111:
	v_mov_b32_e32 v8, 0
	global_load_dwordx2 v[2:3], v8, s[8:9] offset:40
	global_load_dwordx2 v[11:12], v8, s[8:9] offset:24 glc
	global_load_dwordx2 v[4:5], v8, s[8:9]
	s_waitcnt vmcnt(2)
	v_readfirstlane_b32 s14, v2
	v_readfirstlane_b32 s15, v3
	s_add_u32 s16, s14, 1
	s_addc_u32 s17, s15, 0
	s_add_u32 s4, s16, s10
	s_addc_u32 s5, s17, s11
	s_cmp_eq_u64 s[4:5], 0
	s_cselect_b32 s5, s17, s5
	s_cselect_b32 s4, s16, s4
	s_and_b64 s[10:11], s[4:5], s[14:15]
	s_mul_i32 s11, s11, 24
	s_mul_hi_u32 s14, s10, 24
	s_mul_i32 s10, s10, 24
	s_add_i32 s11, s14, s11
	v_mov_b32_e32 v2, s11
	s_waitcnt vmcnt(0)
	v_add_co_u32_e32 v6, vcc, s10, v4
	v_addc_co_u32_e32 v7, vcc, v5, v2, vcc
	v_mov_b32_e32 v9, s4
	global_store_dwordx2 v[6:7], v[11:12], off
	v_mov_b32_e32 v10, s5
	s_waitcnt vmcnt(0)
	global_atomic_cmpswap_x2 v[4:5], v8, v[9:12], s[8:9] offset:24 glc
	s_mov_b64 s[10:11], 0
	s_waitcnt vmcnt(0)
	v_cmp_ne_u64_e32 vcc, v[4:5], v[11:12]
	s_and_b64 exec, exec, vcc
	s_cbranch_execz .LBB2_113
.LBB2_112:                              ; =>This Inner Loop Header: Depth=1
	s_sleep 1
	global_store_dwordx2 v[6:7], v[4:5], off
	v_mov_b32_e32 v2, s4
	v_mov_b32_e32 v3, s5
	s_waitcnt vmcnt(0)
	global_atomic_cmpswap_x2 v[2:3], v8, v[2:5], s[8:9] offset:24 glc
	s_waitcnt vmcnt(0)
	v_cmp_eq_u64_e32 vcc, v[2:3], v[4:5]
	v_mov_b32_e32 v5, v3
	s_or_b64 s[10:11], vcc, s[10:11]
	v_mov_b32_e32 v4, v2
	s_andn2_b64 exec, exec, s[10:11]
	s_cbranch_execnz .LBB2_112
.LBB2_113:
	s_or_b64 exec, exec, s[12:13]
	s_or_b64 exec, exec, s[6:7]
	s_waitcnt vmcnt(0) lgkmcnt(0)
	s_setpc_b64 s[30:31]
.Lfunc_end2:
	.size	__ockl_printf_append_string_n, .Lfunc_end2-__ockl_printf_append_string_n
                                        ; -- End function
	.set .L__ockl_printf_append_string_n.num_vgpr, 37
	.set .L__ockl_printf_append_string_n.num_agpr, 0
	.set .L__ockl_printf_append_string_n.numbered_sgpr, 32
	.set .L__ockl_printf_append_string_n.num_named_barrier, 0
	.set .L__ockl_printf_append_string_n.private_seg_size, 0
	.set .L__ockl_printf_append_string_n.uses_vcc, 1
	.set .L__ockl_printf_append_string_n.uses_flat_scratch, 0
	.set .L__ockl_printf_append_string_n.has_dyn_sized_stack, 0
	.set .L__ockl_printf_append_string_n.has_recursion, 0
	.set .L__ockl_printf_append_string_n.has_indirect_call, 0
	.section	.AMDGPU.csdata,"",@progbits
; Function info:
; codeLenInByte = 3864
; TotalNumSgprs: 36
; NumVgprs: 37
; ScratchSize: 0
; MemoryBound: 0
	.text
	.p2align	2                               ; -- Begin function _ZN19hipPrintfStressTest10startPrintEjjPjS0_
	.type	_ZN19hipPrintfStressTest10startPrintEjjPjS0_,@function
_ZN19hipPrintfStressTest10startPrintEjjPjS0_: ; @_ZN19hipPrintfStressTest10startPrintEjjPjS0_
; %bb.0:
	s_waitcnt vmcnt(0) expcnt(0) lgkmcnt(0)
	s_mov_b32 s4, s33
	s_mov_b32 s33, s32
	s_or_saveexec_b64 s[6:7], -1
	buffer_store_dword v57, off, s[0:3], s33 offset:36 ; 4-byte Folded Spill
	s_mov_b64 exec, s[6:7]
	v_writelane_b32 v57, s4, 10
	s_addk_i32 s32, 0xc00
	buffer_store_dword v40, off, s[0:3], s33 offset:32 ; 4-byte Folded Spill
	buffer_store_dword v41, off, s[0:3], s33 offset:28 ; 4-byte Folded Spill
	;; [unrolled: 1-line block ×8, first 2 shown]
	buffer_store_dword v56, off, s[0:3], s33 ; 4-byte Folded Spill
	v_writelane_b32 v57, s34, 0
	v_writelane_b32 v57, s35, 1
	;; [unrolled: 1-line block ×10, first 2 shown]
	v_mov_b32_e32 v41, v1
	v_mov_b32_e32 v50, v0
	s_mov_b32 s40, 0
	v_cmp_ne_u32_e32 vcc, 0, v41
	s_and_saveexec_b64 s[28:29], vcc
	s_cbranch_execz .LBB3_1584
; %bb.1:
	s_mov_b32 s4, 0x24924925
	v_mul_hi_u32 v0, v50, s4
	s_getpc_b64 s[4:5]
	s_add_u32 s4, s4, .str.5@rel32@lo+4
	s_addc_u32 s5, s5, .str.5@rel32@hi+12
	s_cmp_lg_u64 s[4:5], 0
	s_cselect_b64 s[46:47], -1, 0
	s_getpc_b64 s[4:5]
	s_add_u32 s4, s4, .str.4@rel32@lo+4
	s_addc_u32 s5, s5, .str.4@rel32@hi+12
	s_cmp_lg_u64 s[4:5], 0
	s_cselect_b64 s[56:57], -1, 0
	s_getpc_b64 s[4:5]
	s_add_u32 s4, s4, .str.3@rel32@lo+4
	s_addc_u32 s5, s5, .str.3@rel32@hi+12
	s_cmp_lg_u64 s[4:5], 0
	s_cselect_b64 s[58:59], -1, 0
	s_getpc_b64 s[4:5]
	s_add_u32 s4, s4, .str@rel32@lo+4
	s_addc_u32 s5, s5, .str@rel32@hi+12
	s_cmp_lg_u64 s[4:5], 0
	s_cselect_b64 s[60:61], -1, 0
	s_getpc_b64 s[4:5]
	s_add_u32 s4, s4, .str.2@rel32@lo+4
	s_addc_u32 s5, s5, .str.2@rel32@hi+12
	s_cmp_lg_u64 s[4:5], 0
	s_cselect_b64 s[62:63], -1, 0
	s_getpc_b64 s[4:5]
	s_add_u32 s4, s4, .str.1@rel32@lo+4
	s_addc_u32 s5, s5, .str.1@rel32@hi+12
	;; [unrolled: 5-line block ×3, first 2 shown]
	s_getpc_b64 s[6:7]
	s_add_u32 s6, s6, .str.14@rel32@lo+4
	s_addc_u32 s7, s7, .str.14@rel32@hi+12
	s_mov_b64 s[26:27], s[8:9]
	s_getpc_b64 s[8:9]
	s_add_u32 s8, s8, .str.13@rel32@lo+4
	s_addc_u32 s9, s9, .str.13@rel32@hi+12
	s_getpc_b64 s[10:11]
	s_add_u32 s10, s10, .str.15@rel32@lo+4
	s_addc_u32 s11, s11, .str.15@rel32@hi+12
	;; [unrolled: 3-line block ×12, first 2 shown]
	s_cmp_lg_u64 s[4:5], 0
	s_cselect_b32 s88, 23, 0
	s_cmp_lg_u64 s[6:7], 0
	s_cselect_b32 s89, 31, 0
	;; [unrolled: 2-line block ×4, first 2 shown]
	s_cmp_lg_u64 s[12:13], 0
	v_sub_u32_e32 v1, v50, v0
	s_cselect_b32 s92, 17, 0
	s_cmp_lg_u64 s[14:15], 0
	v_lshrrev_b32_e32 v1, 1, v1
	s_cselect_b32 s93, 54, 0
	s_cmp_lg_u64 s[16:17], 0
	v_add_u32_e32 v0, v1, v0
	v_mov_b32_e32 v54, 0
	s_cselect_b32 s94, 54, 0
	s_cmp_lg_u64 s[18:19], 0
	v_lshrrev_b32_e32 v0, 2, v0
	v_mov_b32_e32 v51, v54
	s_cselect_b32 s95, 54, 0
	s_cmp_lg_u64 s[20:21], 0
	v_mul_lo_u32 v6, v0, 7
	v_lshlrev_b64 v[0:1], 2, v[50:51]
	s_cselect_b32 s34, 54, 0
	s_cmp_lg_u64 s[22:23], 0
	s_cselect_b32 s35, 60, 0
	s_cmp_lg_u64 s[24:25], 0
	v_add_co_u32_e32 v42, vcc, v2, v0
	s_cselect_b32 s36, 60, 0
	s_cmp_lg_u64 s[42:43], 0
	v_addc_co_u32_e32 v43, vcc, v3, v1, vcc
	s_cselect_b32 s37, 60, 0
	s_cmp_lg_u64 s[74:75], 0
	v_add_co_u32_e32 v44, vcc, v4, v0
	s_cselect_b32 s38, 60, 0
	s_cmp_lg_u64 s[76:77], 0
	v_mbcnt_lo_u32_b32 v0, -1, 0
	v_sub_u32_e32 v46, v50, v6
	v_addc_co_u32_e32 v45, vcc, v5, v1, vcc
	s_mov_b64 s[44:45], 0
	s_cselect_b32 s39, 16, 0
	v_mbcnt_hi_u32_b32 v47, -1, v0
	s_movk_i32 s48, 0xff1f
	v_mov_b32_e32 v40, 1
	s_movk_i32 s49, 0xff1d
	v_mov_b32_e32 v39, 2
	v_mov_b32_e32 v52, 33
	;; [unrolled: 1-line block ×4, first 2 shown]
	s_branch .LBB3_3
.LBB3_2:                                ;   in Loop: Header=BB3_3 Depth=1
	s_getpc_b64 s[76:77]
	s_add_u32 s76, s76, __ockl_printf_begin@rel32@lo+4
	s_addc_u32 s77, s77, __ockl_printf_begin@rel32@hi+12
	s_mov_b64 s[8:9], s[26:27]
	s_swappc_b64 s[30:31], s[76:77]
	s_getpc_b64 s[4:5]
	s_add_u32 s4, s4, .str.14@rel32@lo+4
	s_addc_u32 s5, s5, .str.14@rel32@hi+12
	s_mov_b64 s[8:9], s[26:27]
	v_mov_b32_e32 v2, s4
	v_mov_b32_e32 v3, s5
	;; [unrolled: 1-line block ×4, first 2 shown]
	s_swappc_b64 s[30:31], s[74:75]
	s_getpc_b64 s[78:79]
	s_add_u32 s78, s78, .str.13@rel32@lo+4
	s_addc_u32 s79, s79, .str.13@rel32@hi+12
	s_mov_b64 s[8:9], s[26:27]
	v_mov_b32_e32 v2, s78
	v_mov_b32_e32 v3, s79
	v_mov_b32_e32 v4, s90
	v_mov_b32_e32 v5, v54
	s_swappc_b64 s[30:31], s[74:75]
	s_mov_b64 s[8:9], s[26:27]
	v_mov_b32_e32 v2, 0xf8a432eb
	v_mov_b32_e32 v3, v54
	v_mov_b32_e32 v4, v54
	s_swappc_b64 s[30:31], s[42:43]
	s_mov_b64 s[8:9], s[26:27]
	v_mov_b32_e32 v2, s78
	v_mov_b32_e32 v3, s79
	v_mov_b32_e32 v4, s90
	v_mov_b32_e32 v5, v54
	s_swappc_b64 s[30:31], s[74:75]
	s_mov_b64 s[8:9], s[26:27]
	v_mov_b32_e32 v2, 0x75bcd15
	v_mov_b32_e32 v3, v54
	v_mov_b32_e32 v4, v54
	s_swappc_b64 s[30:31], s[42:43]
	;; [unrolled: 11-line block ×5, first 2 shown]
	s_mov_b64 s[8:9], s[26:27]
	v_mov_b32_e32 v37, v0
	s_swappc_b64 s[30:31], s[76:77]
	s_getpc_b64 s[78:79]
	s_add_u32 s78, s78, .str.15@rel32@lo+4
	s_addc_u32 s79, s79, .str.15@rel32@hi+12
	s_mov_b64 s[8:9], s[26:27]
	v_mov_b32_e32 v2, s78
	v_mov_b32_e32 v3, s79
	;; [unrolled: 1-line block ×4, first 2 shown]
	s_swappc_b64 s[30:31], s[74:75]
	s_mov_b64 s[8:9], s[26:27]
	v_bfrev_b32_e32 v2, 7
	v_mov_b32_e32 v3, 0x47efffff
	v_mov_b32_e32 v4, v54
	s_swappc_b64 s[30:31], s[42:43]
	s_mov_b64 s[8:9], s[26:27]
	v_mov_b32_e32 v2, v54
	v_mov_b32_e32 v3, 0x38100000
	;; [unrolled: 1-line block ×3, first 2 shown]
	s_swappc_b64 s[30:31], s[42:43]
	s_mov_b64 s[8:9], s[26:27]
	v_bfrev_b32_e32 v2, 7
	v_mov_b32_e32 v3, 0x47efffff
	v_mov_b32_e32 v4, v54
	s_swappc_b64 s[30:31], s[42:43]
	s_mov_b64 s[8:9], s[26:27]
	v_mov_b32_e32 v2, v54
	v_mov_b32_e32 v3, 0x38100000
	;; [unrolled: 1-line block ×3, first 2 shown]
	s_swappc_b64 s[30:31], s[42:43]
	s_mov_b64 s[8:9], s[26:27]
	v_add3_u32 v38, v38, v37, v0
	s_swappc_b64 s[30:31], s[76:77]
	s_mov_b64 s[8:9], s[26:27]
	v_mov_b32_e32 v2, s78
	v_mov_b32_e32 v3, s79
	;; [unrolled: 1-line block ×4, first 2 shown]
	s_swappc_b64 s[30:31], s[74:75]
	s_mov_b64 s[8:9], s[26:27]
	v_mov_b32_e32 v2, -1
	v_mov_b32_e32 v3, 0x7fefffff
	v_mov_b32_e32 v4, v54
	s_swappc_b64 s[30:31], s[42:43]
	s_mov_b64 s[8:9], s[26:27]
	v_mov_b32_e32 v2, v54
	v_mov_b32_e32 v3, 0x100000
	;; [unrolled: 1-line block ×3, first 2 shown]
	s_swappc_b64 s[30:31], s[42:43]
	s_mov_b64 s[8:9], s[26:27]
	v_mov_b32_e32 v2, -1
	v_mov_b32_e32 v3, 0x7fefffff
	v_mov_b32_e32 v4, v54
	s_swappc_b64 s[30:31], s[42:43]
	s_mov_b64 s[8:9], s[26:27]
	v_mov_b32_e32 v2, v54
	v_mov_b32_e32 v3, 0x100000
	;; [unrolled: 1-line block ×3, first 2 shown]
	s_swappc_b64 s[30:31], s[42:43]
	s_mov_b64 s[8:9], s[26:27]
	v_mov_b32_e32 v37, v0
	s_swappc_b64 s[30:31], s[76:77]
	s_getpc_b64 s[78:79]
	s_add_u32 s78, s78, .str.16@rel32@lo+4
	s_addc_u32 s79, s79, .str.16@rel32@hi+12
	s_mov_b64 s[8:9], s[26:27]
	v_mov_b32_e32 v2, s78
	v_mov_b32_e32 v3, s79
	v_mov_b32_e32 v4, s92
	v_mov_b32_e32 v5, v54
	s_swappc_b64 s[30:31], s[74:75]
	s_mov_b64 s[8:9], s[26:27]
	v_bfrev_b32_e32 v2, 7
	v_mov_b32_e32 v3, 0x47efffff
	v_mov_b32_e32 v4, v54
	s_swappc_b64 s[30:31], s[42:43]
	s_mov_b64 s[8:9], s[26:27]
	v_mov_b32_e32 v2, v54
	v_mov_b32_e32 v3, 0x38100000
	;; [unrolled: 1-line block ×3, first 2 shown]
	s_swappc_b64 s[30:31], s[42:43]
	s_mov_b64 s[8:9], s[26:27]
	v_bfrev_b32_e32 v2, 7
	v_mov_b32_e32 v3, 0x47efffff
	v_mov_b32_e32 v4, v54
	s_swappc_b64 s[30:31], s[42:43]
	s_mov_b64 s[8:9], s[26:27]
	v_mov_b32_e32 v2, v54
	v_mov_b32_e32 v3, 0x38100000
	;; [unrolled: 1-line block ×3, first 2 shown]
	s_swappc_b64 s[30:31], s[42:43]
	s_mov_b64 s[8:9], s[26:27]
	v_add3_u32 v38, v38, v37, v0
	s_swappc_b64 s[30:31], s[76:77]
	s_mov_b64 s[8:9], s[26:27]
	v_mov_b32_e32 v2, s78
	v_mov_b32_e32 v3, s79
	;; [unrolled: 1-line block ×4, first 2 shown]
	s_swappc_b64 s[30:31], s[74:75]
	s_mov_b64 s[8:9], s[26:27]
	v_mov_b32_e32 v2, -1
	v_mov_b32_e32 v3, 0x7fefffff
	v_mov_b32_e32 v4, v54
	s_swappc_b64 s[30:31], s[42:43]
	s_mov_b64 s[8:9], s[26:27]
	v_mov_b32_e32 v2, v54
	v_mov_b32_e32 v3, 0x100000
	;; [unrolled: 1-line block ×3, first 2 shown]
	s_swappc_b64 s[30:31], s[42:43]
	s_mov_b64 s[8:9], s[26:27]
	v_mov_b32_e32 v2, -1
	v_mov_b32_e32 v3, 0x7fefffff
	v_mov_b32_e32 v4, v54
	s_swappc_b64 s[30:31], s[42:43]
	s_mov_b64 s[8:9], s[26:27]
	v_mov_b32_e32 v2, v54
	v_mov_b32_e32 v3, 0x100000
	;; [unrolled: 1-line block ×3, first 2 shown]
	s_swappc_b64 s[30:31], s[42:43]
	s_mov_b64 s[8:9], s[26:27]
	v_mov_b32_e32 v37, v0
	s_swappc_b64 s[30:31], s[76:77]
	s_getpc_b64 s[4:5]
	s_add_u32 s4, s4, .str.17@rel32@lo+4
	s_addc_u32 s5, s5, .str.17@rel32@hi+12
	s_mov_b64 s[8:9], s[26:27]
	v_mov_b32_e32 v2, s4
	v_mov_b32_e32 v3, s5
	;; [unrolled: 1-line block ×4, first 2 shown]
	s_swappc_b64 s[30:31], s[74:75]
	s_mov_b64 s[8:9], s[26:27]
	v_mov_b32_e32 v2, -1
	v_mov_b32_e32 v3, -1
	v_mov_b32_e32 v4, v54
	s_swappc_b64 s[30:31], s[42:43]
	s_mov_b64 s[8:9], s[26:27]
	v_mov_b32_e32 v2, v54
	v_mov_b32_e32 v3, v54
	v_mov_b32_e32 v4, v54
	s_swappc_b64 s[30:31], s[42:43]
	s_mov_b64 s[8:9], s[26:27]
	v_mov_b32_e32 v2, -1
	v_bfrev_b32_e32 v3, -2
	v_mov_b32_e32 v4, v54
	s_swappc_b64 s[30:31], s[42:43]
	s_mov_b64 s[8:9], s[26:27]
	v_mov_b32_e32 v2, v54
	v_bfrev_b32_e32 v3, 1
	v_mov_b32_e32 v4, v54
	s_swappc_b64 s[30:31], s[42:43]
	s_mov_b64 s[8:9], s[26:27]
	v_mov_b32_e32 v2, -1
	v_mov_b32_e32 v3, -1
	v_mov_b32_e32 v4, v54
	s_swappc_b64 s[30:31], s[42:43]
	s_mov_b64 s[8:9], s[26:27]
	v_mov_b32_e32 v2, v54
	v_mov_b32_e32 v3, v54
	v_mov_b32_e32 v4, v54
	s_swappc_b64 s[30:31], s[42:43]
	s_mov_b64 s[8:9], s[26:27]
	v_mov_b32_e32 v2, -1
	v_bfrev_b32_e32 v3, -2
	v_mov_b32_e32 v4, v54
	s_swappc_b64 s[30:31], s[42:43]
	s_mov_b64 s[8:9], s[26:27]
	v_mov_b32_e32 v2, v54
	v_bfrev_b32_e32 v3, 1
	v_mov_b32_e32 v4, v54
	s_swappc_b64 s[30:31], s[42:43]
	s_mov_b64 s[8:9], s[26:27]
	v_mov_b32_e32 v2, -1
	v_mov_b32_e32 v3, -1
	v_mov_b32_e32 v4, v54
	s_swappc_b64 s[30:31], s[42:43]
	s_mov_b64 s[8:9], s[26:27]
	v_mov_b32_e32 v2, v54
	v_mov_b32_e32 v3, v54
	;; [unrolled: 1-line block ×3, first 2 shown]
	s_swappc_b64 s[30:31], s[42:43]
	s_mov_b64 s[8:9], s[26:27]
	v_add3_u32 v38, v38, v37, v0
	s_swappc_b64 s[30:31], s[76:77]
	s_getpc_b64 s[4:5]
	s_add_u32 s4, s4, .str.18@rel32@lo+4
	s_addc_u32 s5, s5, .str.18@rel32@hi+12
	s_mov_b64 s[8:9], s[26:27]
	v_mov_b32_e32 v2, s4
	v_mov_b32_e32 v3, s5
	;; [unrolled: 1-line block ×4, first 2 shown]
	s_swappc_b64 s[30:31], s[74:75]
	s_mov_b64 s[8:9], s[26:27]
	v_mov_b32_e32 v2, -1
	v_mov_b32_e32 v3, -1
	v_mov_b32_e32 v4, v54
	s_swappc_b64 s[30:31], s[42:43]
	s_mov_b64 s[8:9], s[26:27]
	v_mov_b32_e32 v2, v54
	v_mov_b32_e32 v3, v54
	;; [unrolled: 1-line block ×3, first 2 shown]
	s_swappc_b64 s[30:31], s[42:43]
	s_mov_b64 s[8:9], s[26:27]
	v_mov_b32_e32 v2, -1
	v_bfrev_b32_e32 v3, -2
	v_mov_b32_e32 v4, v54
	s_swappc_b64 s[30:31], s[42:43]
	s_mov_b64 s[8:9], s[26:27]
	v_mov_b32_e32 v2, v54
	v_bfrev_b32_e32 v3, 1
	v_mov_b32_e32 v4, v54
	s_swappc_b64 s[30:31], s[42:43]
	s_mov_b64 s[8:9], s[26:27]
	v_mov_b32_e32 v2, -1
	v_mov_b32_e32 v3, -1
	v_mov_b32_e32 v4, v54
	s_swappc_b64 s[30:31], s[42:43]
	s_mov_b64 s[8:9], s[26:27]
	v_mov_b32_e32 v2, v54
	v_mov_b32_e32 v3, v54
	v_mov_b32_e32 v4, v54
	s_swappc_b64 s[30:31], s[42:43]
	s_mov_b64 s[8:9], s[26:27]
	v_mov_b32_e32 v2, -1
	v_bfrev_b32_e32 v3, -2
	v_mov_b32_e32 v4, v54
	s_swappc_b64 s[30:31], s[42:43]
	s_mov_b64 s[8:9], s[26:27]
	v_mov_b32_e32 v2, v54
	v_bfrev_b32_e32 v3, 1
	v_mov_b32_e32 v4, v54
	s_swappc_b64 s[30:31], s[42:43]
	s_mov_b64 s[8:9], s[26:27]
	v_mov_b32_e32 v2, -1
	v_mov_b32_e32 v3, -1
	v_mov_b32_e32 v4, v54
	s_swappc_b64 s[30:31], s[42:43]
	s_mov_b64 s[8:9], s[26:27]
	v_mov_b32_e32 v2, v54
	v_mov_b32_e32 v3, v54
	;; [unrolled: 1-line block ×3, first 2 shown]
	s_swappc_b64 s[30:31], s[42:43]
	s_mov_b64 s[8:9], s[26:27]
	v_mov_b32_e32 v37, v0
	s_swappc_b64 s[30:31], s[76:77]
	s_getpc_b64 s[4:5]
	s_add_u32 s4, s4, .str.19@rel32@lo+4
	s_addc_u32 s5, s5, .str.19@rel32@hi+12
	s_mov_b64 s[8:9], s[26:27]
	v_mov_b32_e32 v2, s4
	v_mov_b32_e32 v3, s5
	;; [unrolled: 1-line block ×4, first 2 shown]
	s_swappc_b64 s[30:31], s[74:75]
	s_mov_b64 s[8:9], s[26:27]
	v_mov_b32_e32 v2, -1
	v_mov_b32_e32 v3, -1
	v_mov_b32_e32 v4, v54
	s_swappc_b64 s[30:31], s[42:43]
	s_mov_b64 s[8:9], s[26:27]
	v_mov_b32_e32 v2, v54
	v_mov_b32_e32 v3, v54
	;; [unrolled: 1-line block ×3, first 2 shown]
	s_swappc_b64 s[30:31], s[42:43]
	s_mov_b64 s[8:9], s[26:27]
	v_mov_b32_e32 v2, -1
	v_bfrev_b32_e32 v3, -2
	v_mov_b32_e32 v4, v54
	s_swappc_b64 s[30:31], s[42:43]
	s_mov_b64 s[8:9], s[26:27]
	v_mov_b32_e32 v2, v54
	v_bfrev_b32_e32 v3, 1
	v_mov_b32_e32 v4, v54
	s_swappc_b64 s[30:31], s[42:43]
	s_mov_b64 s[8:9], s[26:27]
	v_mov_b32_e32 v2, -1
	v_mov_b32_e32 v3, -1
	v_mov_b32_e32 v4, v54
	s_swappc_b64 s[30:31], s[42:43]
	s_mov_b64 s[8:9], s[26:27]
	v_mov_b32_e32 v2, v54
	v_mov_b32_e32 v3, v54
	v_mov_b32_e32 v4, v54
	s_swappc_b64 s[30:31], s[42:43]
	s_mov_b64 s[8:9], s[26:27]
	v_mov_b32_e32 v2, -1
	v_bfrev_b32_e32 v3, -2
	v_mov_b32_e32 v4, v54
	s_swappc_b64 s[30:31], s[42:43]
	s_mov_b64 s[8:9], s[26:27]
	v_mov_b32_e32 v2, v54
	v_bfrev_b32_e32 v3, 1
	v_mov_b32_e32 v4, v54
	s_swappc_b64 s[30:31], s[42:43]
	s_mov_b64 s[8:9], s[26:27]
	v_mov_b32_e32 v2, -1
	v_mov_b32_e32 v3, -1
	v_mov_b32_e32 v4, v54
	s_swappc_b64 s[30:31], s[42:43]
	s_mov_b64 s[8:9], s[26:27]
	v_mov_b32_e32 v2, v54
	v_mov_b32_e32 v3, v54
	;; [unrolled: 1-line block ×3, first 2 shown]
	s_swappc_b64 s[30:31], s[42:43]
	s_mov_b64 s[8:9], s[26:27]
	v_add3_u32 v38, v38, v37, v0
	s_swappc_b64 s[30:31], s[76:77]
	s_getpc_b64 s[4:5]
	s_add_u32 s4, s4, .str.20@rel32@lo+4
	s_addc_u32 s5, s5, .str.20@rel32@hi+12
	s_mov_b64 s[8:9], s[26:27]
	v_mov_b32_e32 v2, s4
	v_mov_b32_e32 v3, s5
	;; [unrolled: 1-line block ×4, first 2 shown]
	s_swappc_b64 s[30:31], s[74:75]
	s_mov_b64 s[8:9], s[26:27]
	v_mov_b32_e32 v2, -1
	v_mov_b32_e32 v3, -1
	v_mov_b32_e32 v4, v54
	s_swappc_b64 s[30:31], s[42:43]
	s_mov_b64 s[8:9], s[26:27]
	v_mov_b32_e32 v2, v54
	v_mov_b32_e32 v3, v54
	;; [unrolled: 1-line block ×3, first 2 shown]
	s_swappc_b64 s[30:31], s[42:43]
	s_mov_b64 s[8:9], s[26:27]
	v_mov_b32_e32 v2, -1
	v_bfrev_b32_e32 v3, -2
	v_mov_b32_e32 v4, v54
	s_swappc_b64 s[30:31], s[42:43]
	s_mov_b64 s[8:9], s[26:27]
	v_mov_b32_e32 v2, v54
	v_bfrev_b32_e32 v3, 1
	v_mov_b32_e32 v4, v54
	s_swappc_b64 s[30:31], s[42:43]
	s_mov_b64 s[8:9], s[26:27]
	v_mov_b32_e32 v2, -1
	v_mov_b32_e32 v3, -1
	v_mov_b32_e32 v4, v54
	s_swappc_b64 s[30:31], s[42:43]
	s_mov_b64 s[8:9], s[26:27]
	v_mov_b32_e32 v2, v54
	v_mov_b32_e32 v3, v54
	;; [unrolled: 1-line block ×3, first 2 shown]
	s_swappc_b64 s[30:31], s[42:43]
	s_mov_b64 s[8:9], s[26:27]
	v_mov_b32_e32 v2, -1
	v_bfrev_b32_e32 v3, -2
	v_mov_b32_e32 v4, v54
	s_swappc_b64 s[30:31], s[42:43]
	s_mov_b64 s[8:9], s[26:27]
	v_mov_b32_e32 v2, v54
	v_bfrev_b32_e32 v3, 1
	v_mov_b32_e32 v4, v54
	s_swappc_b64 s[30:31], s[42:43]
	s_mov_b64 s[8:9], s[26:27]
	v_mov_b32_e32 v2, -1
	v_mov_b32_e32 v3, -1
	v_mov_b32_e32 v4, v54
	s_swappc_b64 s[30:31], s[42:43]
	s_mov_b64 s[8:9], s[26:27]
	v_mov_b32_e32 v2, v54
	v_mov_b32_e32 v3, v54
	v_mov_b32_e32 v4, 1
	s_swappc_b64 s[30:31], s[42:43]
	s_mov_b64 s[8:9], s[26:27]
	v_mov_b32_e32 v37, v0
	s_swappc_b64 s[30:31], s[76:77]
	s_getpc_b64 s[4:5]
	s_add_u32 s4, s4, .str.21@rel32@lo+4
	s_addc_u32 s5, s5, .str.21@rel32@hi+12
	s_mov_b64 s[8:9], s[26:27]
	v_mov_b32_e32 v2, s4
	v_mov_b32_e32 v3, s5
	;; [unrolled: 1-line block ×4, first 2 shown]
	s_swappc_b64 s[30:31], s[74:75]
	s_mov_b64 s[8:9], s[26:27]
	v_mov_b32_e32 v2, 0x7fff
	v_mov_b32_e32 v3, v54
	v_mov_b32_e32 v4, v54
	s_swappc_b64 s[30:31], s[42:43]
	s_mov_b64 s[8:9], s[26:27]
	v_mov_b32_e32 v2, 0xffff8000
	v_mov_b32_e32 v3, v54
	v_mov_b32_e32 v4, v54
	;; [unrolled: 5-line block ×8, first 2 shown]
	s_swappc_b64 s[30:31], s[42:43]
	s_mov_b64 s[8:9], s[26:27]
	v_bfrev_b32_e32 v2, -2
	v_mov_b32_e32 v3, v54
	v_mov_b32_e32 v4, v54
	s_swappc_b64 s[30:31], s[42:43]
	s_mov_b64 s[8:9], s[26:27]
	v_bfrev_b32_e32 v2, 1
	v_mov_b32_e32 v3, v54
	v_mov_b32_e32 v4, v54
	s_swappc_b64 s[30:31], s[42:43]
	s_mov_b64 s[8:9], s[26:27]
	v_mov_b32_e32 v2, -1
	v_mov_b32_e32 v3, v54
	v_mov_b32_e32 v4, v54
	s_swappc_b64 s[30:31], s[42:43]
	s_mov_b64 s[8:9], s[26:27]
	v_mov_b32_e32 v2, v54
	v_mov_b32_e32 v3, v54
	;; [unrolled: 1-line block ×3, first 2 shown]
	s_swappc_b64 s[30:31], s[42:43]
	s_mov_b64 s[8:9], s[26:27]
	v_add3_u32 v38, v38, v37, v0
	s_swappc_b64 s[30:31], s[76:77]
	s_getpc_b64 s[4:5]
	s_add_u32 s4, s4, .str.22@rel32@lo+4
	s_addc_u32 s5, s5, .str.22@rel32@hi+12
	s_mov_b64 s[8:9], s[26:27]
	v_mov_b32_e32 v2, s4
	v_mov_b32_e32 v3, s5
	;; [unrolled: 1-line block ×4, first 2 shown]
	s_swappc_b64 s[30:31], s[74:75]
	s_mov_b64 s[8:9], s[26:27]
	v_mov_b32_e32 v2, 0x7fff
	v_mov_b32_e32 v3, v54
	v_mov_b32_e32 v4, v54
	s_swappc_b64 s[30:31], s[42:43]
	s_mov_b64 s[8:9], s[26:27]
	v_mov_b32_e32 v2, 0xffff8000
	v_mov_b32_e32 v3, v54
	v_mov_b32_e32 v4, v54
	s_swappc_b64 s[30:31], s[42:43]
	s_mov_b64 s[8:9], s[26:27]
	v_mov_b32_e32 v2, 0xffff
	v_mov_b32_e32 v3, v54
	v_mov_b32_e32 v4, v54
	s_swappc_b64 s[30:31], s[42:43]
	s_mov_b64 s[8:9], s[26:27]
	v_mov_b32_e32 v2, v54
	v_mov_b32_e32 v3, v54
	v_mov_b32_e32 v4, v54
	s_swappc_b64 s[30:31], s[42:43]
	s_mov_b64 s[8:9], s[26:27]
	v_mov_b32_e32 v2, 0x7f
	v_mov_b32_e32 v3, v54
	v_mov_b32_e32 v4, v54
	s_swappc_b64 s[30:31], s[42:43]
	s_mov_b64 s[8:9], s[26:27]
	v_mov_b32_e32 v2, 0xffffff80
	v_mov_b32_e32 v3, v54
	v_mov_b32_e32 v4, v54
	s_swappc_b64 s[30:31], s[42:43]
	s_mov_b64 s[8:9], s[26:27]
	v_mov_b32_e32 v2, 0xff
	v_mov_b32_e32 v3, v54
	v_mov_b32_e32 v4, v54
	s_swappc_b64 s[30:31], s[42:43]
	s_mov_b64 s[8:9], s[26:27]
	v_mov_b32_e32 v2, v54
	v_mov_b32_e32 v3, v54
	v_mov_b32_e32 v4, v54
	s_swappc_b64 s[30:31], s[42:43]
	s_mov_b64 s[8:9], s[26:27]
	v_bfrev_b32_e32 v2, -2
	v_mov_b32_e32 v3, v54
	v_mov_b32_e32 v4, v54
	s_swappc_b64 s[30:31], s[42:43]
	s_mov_b64 s[8:9], s[26:27]
	v_bfrev_b32_e32 v2, 1
	v_mov_b32_e32 v3, v54
	v_mov_b32_e32 v4, v54
	s_swappc_b64 s[30:31], s[42:43]
	s_mov_b64 s[8:9], s[26:27]
	v_mov_b32_e32 v2, -1
	v_mov_b32_e32 v3, v54
	v_mov_b32_e32 v4, v54
	s_swappc_b64 s[30:31], s[42:43]
	s_mov_b64 s[8:9], s[26:27]
	v_mov_b32_e32 v2, v54
	v_mov_b32_e32 v3, v54
	;; [unrolled: 1-line block ×3, first 2 shown]
	s_swappc_b64 s[30:31], s[42:43]
	s_mov_b64 s[8:9], s[26:27]
	v_mov_b32_e32 v37, v0
	s_swappc_b64 s[30:31], s[76:77]
	s_getpc_b64 s[4:5]
	s_add_u32 s4, s4, .str.23@rel32@lo+4
	s_addc_u32 s5, s5, .str.23@rel32@hi+12
	s_mov_b64 s[8:9], s[26:27]
	v_mov_b32_e32 v2, s4
	v_mov_b32_e32 v3, s5
	;; [unrolled: 1-line block ×4, first 2 shown]
	s_swappc_b64 s[30:31], s[74:75]
	s_mov_b64 s[8:9], s[26:27]
	v_mov_b32_e32 v2, 0x7fff
	v_mov_b32_e32 v3, v54
	v_mov_b32_e32 v4, v54
	s_swappc_b64 s[30:31], s[42:43]
	s_mov_b64 s[8:9], s[26:27]
	v_mov_b32_e32 v2, 0xffff8000
	v_mov_b32_e32 v3, v54
	v_mov_b32_e32 v4, v54
	;; [unrolled: 5-line block ×8, first 2 shown]
	s_swappc_b64 s[30:31], s[42:43]
	s_mov_b64 s[8:9], s[26:27]
	v_bfrev_b32_e32 v2, -2
	v_mov_b32_e32 v3, v54
	v_mov_b32_e32 v4, v54
	s_swappc_b64 s[30:31], s[42:43]
	s_mov_b64 s[8:9], s[26:27]
	v_bfrev_b32_e32 v2, 1
	v_mov_b32_e32 v3, v54
	v_mov_b32_e32 v4, v54
	s_swappc_b64 s[30:31], s[42:43]
	s_mov_b64 s[8:9], s[26:27]
	v_mov_b32_e32 v2, -1
	v_mov_b32_e32 v3, v54
	v_mov_b32_e32 v4, v54
	s_swappc_b64 s[30:31], s[42:43]
	s_mov_b64 s[8:9], s[26:27]
	v_mov_b32_e32 v2, v54
	v_mov_b32_e32 v3, v54
	;; [unrolled: 1-line block ×3, first 2 shown]
	s_swappc_b64 s[30:31], s[42:43]
	s_mov_b64 s[8:9], s[26:27]
	v_add3_u32 v38, v38, v37, v0
	s_swappc_b64 s[30:31], s[76:77]
	s_getpc_b64 s[4:5]
	s_add_u32 s4, s4, .str.24@rel32@lo+4
	s_addc_u32 s5, s5, .str.24@rel32@hi+12
	s_mov_b64 s[8:9], s[26:27]
	v_mov_b32_e32 v2, s4
	v_mov_b32_e32 v3, s5
	;; [unrolled: 1-line block ×4, first 2 shown]
	s_swappc_b64 s[30:31], s[74:75]
	s_mov_b64 s[8:9], s[26:27]
	v_mov_b32_e32 v2, 0x7fff
	v_mov_b32_e32 v3, v54
	v_mov_b32_e32 v4, v54
	s_swappc_b64 s[30:31], s[42:43]
	s_mov_b64 s[8:9], s[26:27]
	v_mov_b32_e32 v2, 0xffff8000
	v_mov_b32_e32 v3, v54
	v_mov_b32_e32 v4, v54
	;; [unrolled: 5-line block ×8, first 2 shown]
	s_swappc_b64 s[30:31], s[42:43]
	s_mov_b64 s[8:9], s[26:27]
	v_bfrev_b32_e32 v2, -2
	v_mov_b32_e32 v3, v54
	v_mov_b32_e32 v4, v54
	s_swappc_b64 s[30:31], s[42:43]
	s_mov_b64 s[8:9], s[26:27]
	v_bfrev_b32_e32 v2, 1
	v_mov_b32_e32 v3, v54
	v_mov_b32_e32 v4, v54
	s_swappc_b64 s[30:31], s[42:43]
	s_mov_b64 s[8:9], s[26:27]
	v_mov_b32_e32 v2, -1
	v_mov_b32_e32 v3, v54
	v_mov_b32_e32 v4, v54
	s_swappc_b64 s[30:31], s[42:43]
	s_mov_b64 s[8:9], s[26:27]
	v_mov_b32_e32 v2, v54
	v_mov_b32_e32 v3, v54
	v_mov_b32_e32 v4, 1
	s_swappc_b64 s[30:31], s[42:43]
	s_mov_b64 s[8:9], s[26:27]
	v_mov_b32_e32 v37, v0
	s_swappc_b64 s[30:31], s[76:77]
	s_getpc_b64 s[4:5]
	s_add_u32 s4, s4, .str.25@rel32@lo+4
	s_addc_u32 s5, s5, .str.25@rel32@hi+12
	s_mov_b64 s[8:9], s[26:27]
	v_mov_b32_e32 v2, s4
	v_mov_b32_e32 v3, s5
	;; [unrolled: 1-line block ×4, first 2 shown]
	s_swappc_b64 s[30:31], s[74:75]
	s_mov_b64 s[8:9], s[26:27]
	v_mov_b32_e32 v2, 0x7f
	v_mov_b32_e32 v3, v54
	v_mov_b32_e32 v4, v54
	s_swappc_b64 s[30:31], s[42:43]
	s_mov_b64 s[8:9], s[26:27]
	v_mov_b32_e32 v2, 0xffffff80
	v_mov_b32_e32 v3, v54
	v_mov_b32_e32 v4, v54
	;; [unrolled: 5-line block ×4, first 2 shown]
	s_swappc_b64 s[30:31], s[42:43]
	v_add_u32_e32 v56, 1, v56
	v_cmp_eq_u32_e32 vcc, v56, v41
	s_or_b64 s[44:45], vcc, s[44:45]
	v_add3_u32 v24, v38, v37, v0
	s_andn2_b64 exec, exec, s[44:45]
	s_cbranch_execz .LBB3_1584
.LBB3_3:                                ; =>This Loop Header: Depth=1
                                        ;     Child Loop BB3_9 Depth 2
                                        ;     Child Loop BB3_17 Depth 2
	;; [unrolled: 1-line block ×9, first 2 shown]
                                        ;       Child Loop BB3_38 Depth 3
                                        ;       Child Loop BB3_46 Depth 3
                                        ;       Child Loop BB3_54 Depth 3
                                        ;       Child Loop BB3_62 Depth 3
                                        ;       Child Loop BB3_70 Depth 3
                                        ;       Child Loop BB3_78 Depth 3
                                        ;       Child Loop BB3_86 Depth 3
                                        ;       Child Loop BB3_94 Depth 3
                                        ;       Child Loop BB3_102 Depth 3
                                        ;       Child Loop BB3_111 Depth 3
                                        ;       Child Loop BB3_116 Depth 3
                                        ;     Child Loop BB3_149 Depth 2
                                        ;     Child Loop BB3_157 Depth 2
                                        ;     Child Loop BB3_166 Depth 2
                                        ;     Child Loop BB3_171 Depth 2
                                        ;     Child Loop BB3_177 Depth 2
                                        ;     Child Loop BB3_185 Depth 2
                                        ;     Child Loop BB3_194 Depth 2
                                        ;     Child Loop BB3_313 Depth 2
                                        ;     Child Loop BB3_653 Depth 2
                                        ;     Child Loop BB3_661 Depth 2
                                        ;     Child Loop BB3_670 Depth 2
                                        ;     Child Loop BB3_675 Depth 2
                                        ;     Child Loop BB3_317 Depth 2
                                        ;       Child Loop BB3_320 Depth 3
                                        ;       Child Loop BB3_328 Depth 3
                                        ;       Child Loop BB3_336 Depth 3
                                        ;       Child Loop BB3_344 Depth 3
                                        ;       Child Loop BB3_352 Depth 3
                                        ;       Child Loop BB3_360 Depth 3
                                        ;       Child Loop BB3_368 Depth 3
                                        ;       Child Loop BB3_376 Depth 3
                                        ;       Child Loop BB3_384 Depth 3
                                        ;       Child Loop BB3_393 Depth 3
                                        ;       Child Loop BB3_398 Depth 3
                                        ;     Child Loop BB3_680 Depth 2
                                        ;     Child Loop BB3_688 Depth 2
                                        ;     Child Loop BB3_697 Depth 2
                                        ;     Child Loop BB3_702 Depth 2
                                        ;     Child Loop BB3_706 Depth 2
                                        ;     Child Loop BB3_714 Depth 2
                                        ;     Child Loop BB3_723 Depth 2
                                        ;     Child Loop BB3_728 Depth 2
                                        ;     Child Loop BB3_732 Depth 2
                                        ;     Child Loop BB3_740 Depth 2
                                        ;     Child Loop BB3_749 Depth 2
                                        ;     Child Loop BB3_754 Depth 2
                                        ;     Child Loop BB3_758 Depth 2
                                        ;     Child Loop BB3_766 Depth 2
                                        ;     Child Loop BB3_775 Depth 2
                                        ;     Child Loop BB3_780 Depth 2
                                        ;     Child Loop BB3_201 Depth 2
                                        ;     Child Loop BB3_209 Depth 2
                                        ;     Child Loop BB3_218 Depth 2
                                        ;     Child Loop BB3_223 Depth 2
                                        ;     Child Loop BB3_403 Depth 2
                                        ;     Child Loop BB3_411 Depth 2
                                        ;     Child Loop BB3_420 Depth 2
                                        ;     Child Loop BB3_425 Depth 2
                                        ;     Child Loop BB3_227 Depth 2
                                        ;       Child Loop BB3_230 Depth 3
                                        ;       Child Loop BB3_238 Depth 3
                                        ;       Child Loop BB3_246 Depth 3
                                        ;       Child Loop BB3_254 Depth 3
                                        ;       Child Loop BB3_262 Depth 3
                                        ;       Child Loop BB3_270 Depth 3
                                        ;       Child Loop BB3_278 Depth 3
                                        ;       Child Loop BB3_286 Depth 3
                                        ;       Child Loop BB3_294 Depth 3
                                        ;       Child Loop BB3_303 Depth 3
                                        ;       Child Loop BB3_308 Depth 3
                                        ;     Child Loop BB3_430 Depth 2
                                        ;     Child Loop BB3_438 Depth 2
                                        ;     Child Loop BB3_447 Depth 2
                                        ;     Child Loop BB3_452 Depth 2
                                        ;     Child Loop BB3_456 Depth 2
                                        ;     Child Loop BB3_464 Depth 2
                                        ;     Child Loop BB3_473 Depth 2
                                        ;     Child Loop BB3_478 Depth 2
                                        ;     Child Loop BB3_482 Depth 2
                                        ;     Child Loop BB3_490 Depth 2
                                        ;     Child Loop BB3_499 Depth 2
                                        ;     Child Loop BB3_504 Depth 2
	;; [unrolled: 36-line block ×3, first 2 shown]
                                        ;     Child Loop BB3_893 Depth 2
                                        ;     Child Loop BB3_901 Depth 2
                                        ;     Child Loop BB3_910 Depth 2
                                        ;     Child Loop BB3_940 Depth 2
                                        ;     Child Loop BB3_1121 Depth 2
                                        ;     Child Loop BB3_1129 Depth 2
                                        ;     Child Loop BB3_1138 Depth 2
                                        ;     Child Loop BB3_1143 Depth 2
                                        ;     Child Loop BB3_944 Depth 2
                                        ;       Child Loop BB3_947 Depth 3
                                        ;       Child Loop BB3_955 Depth 3
                                        ;       Child Loop BB3_963 Depth 3
                                        ;       Child Loop BB3_971 Depth 3
                                        ;       Child Loop BB3_979 Depth 3
                                        ;       Child Loop BB3_987 Depth 3
                                        ;       Child Loop BB3_995 Depth 3
                                        ;       Child Loop BB3_1003 Depth 3
                                        ;       Child Loop BB3_1011 Depth 3
                                        ;       Child Loop BB3_1020 Depth 3
                                        ;       Child Loop BB3_1025 Depth 3
                                        ;     Child Loop BB3_1148 Depth 2
                                        ;     Child Loop BB3_1156 Depth 2
                                        ;     Child Loop BB3_1165 Depth 2
                                        ;     Child Loop BB3_1170 Depth 2
                                        ;     Child Loop BB3_1174 Depth 2
                                        ;     Child Loop BB3_1182 Depth 2
                                        ;     Child Loop BB3_1191 Depth 2
                                        ;     Child Loop BB3_1196 Depth 2
                                        ;     Child Loop BB3_1200 Depth 2
                                        ;     Child Loop BB3_1208 Depth 2
                                        ;     Child Loop BB3_1217 Depth 2
                                        ;     Child Loop BB3_1222 Depth 2
                                        ;     Child Loop BB3_918 Depth 2
                                        ;     Child Loop BB3_926 Depth 2
                                        ;     Child Loop BB3_935 Depth 2
                                        ;     Child Loop BB3_1029 Depth 2
                                        ;     Child Loop BB3_1228 Depth 2
                                        ;     Child Loop BB3_1236 Depth 2
                                        ;     Child Loop BB3_1245 Depth 2
                                        ;     Child Loop BB3_1250 Depth 2
                                        ;     Child Loop BB3_1033 Depth 2
                                        ;       Child Loop BB3_1036 Depth 3
                                        ;       Child Loop BB3_1044 Depth 3
                                        ;       Child Loop BB3_1052 Depth 3
                                        ;       Child Loop BB3_1060 Depth 3
                                        ;       Child Loop BB3_1068 Depth 3
                                        ;       Child Loop BB3_1076 Depth 3
                                        ;       Child Loop BB3_1084 Depth 3
                                        ;       Child Loop BB3_1092 Depth 3
                                        ;       Child Loop BB3_1100 Depth 3
                                        ;       Child Loop BB3_1109 Depth 3
                                        ;       Child Loop BB3_1114 Depth 3
                                        ;     Child Loop BB3_1255 Depth 2
                                        ;     Child Loop BB3_1263 Depth 2
                                        ;     Child Loop BB3_1272 Depth 2
                                        ;     Child Loop BB3_1277 Depth 2
                                        ;     Child Loop BB3_1281 Depth 2
                                        ;     Child Loop BB3_1289 Depth 2
                                        ;     Child Loop BB3_1298 Depth 2
                                        ;     Child Loop BB3_1303 Depth 2
                                        ;     Child Loop BB3_1307 Depth 2
                                        ;     Child Loop BB3_1315 Depth 2
                                        ;     Child Loop BB3_1324 Depth 2
                                        ;     Child Loop BB3_1329 Depth 2
                                        ;     Child Loop BB3_1335 Depth 2
                                        ;     Child Loop BB3_1343 Depth 2
                                        ;     Child Loop BB3_1352 Depth 2
                                        ;     Child Loop BB3_1357 Depth 2
                                        ;     Child Loop BB3_1448 Depth 2
                                        ;     Child Loop BB3_1456 Depth 2
                                        ;     Child Loop BB3_1465 Depth 2
                                        ;     Child Loop BB3_1470 Depth 2
                                        ;     Child Loop BB3_1361 Depth 2
                                        ;       Child Loop BB3_1364 Depth 3
                                        ;       Child Loop BB3_1372 Depth 3
                                        ;       Child Loop BB3_1380 Depth 3
                                        ;       Child Loop BB3_1388 Depth 3
                                        ;       Child Loop BB3_1396 Depth 3
                                        ;       Child Loop BB3_1404 Depth 3
                                        ;       Child Loop BB3_1412 Depth 3
                                        ;       Child Loop BB3_1420 Depth 3
                                        ;       Child Loop BB3_1428 Depth 3
                                        ;       Child Loop BB3_1437 Depth 3
                                        ;       Child Loop BB3_1442 Depth 3
                                        ;     Child Loop BB3_1475 Depth 2
                                        ;     Child Loop BB3_1483 Depth 2
                                        ;     Child Loop BB3_1492 Depth 2
                                        ;     Child Loop BB3_1497 Depth 2
                                        ;     Child Loop BB3_1501 Depth 2
                                        ;     Child Loop BB3_1509 Depth 2
                                        ;     Child Loop BB3_1518 Depth 2
                                        ;     Child Loop BB3_1523 Depth 2
                                        ;     Child Loop BB3_1527 Depth 2
                                        ;     Child Loop BB3_1535 Depth 2
                                        ;     Child Loop BB3_1544 Depth 2
                                        ;     Child Loop BB3_1549 Depth 2
                                        ;     Child Loop BB3_1554 Depth 2
                                        ;       Child Loop BB3_1580 Depth 3
	flat_load_dword v25, v[42:43]
	v_cmp_lt_i32_e32 vcc, 3, v46
                                        ; implicit-def: $vgpr0_vgpr1
	s_and_saveexec_b64 s[4:5], vcc
	s_xor_b64 s[18:19], exec, s[4:5]
	s_cbranch_execz .LBB3_533
; %bb.4:                                ;   in Loop: Header=BB3_3 Depth=1
	v_cmp_lt_i32_e32 vcc, 4, v46
                                        ; implicit-def: $vgpr0_vgpr1
	s_and_saveexec_b64 s[4:5], vcc
	s_xor_b64 s[20:21], exec, s[4:5]
	s_cbranch_execz .LBB3_197
; %bb.5:                                ;   in Loop: Header=BB3_3 Depth=1
	;; [unrolled: 6-line block ×3, first 2 shown]
	flat_load_dword v26, v[44:45]
	s_load_dwordx2 s[6:7], s[26:27], 0x50
	v_readfirstlane_b32 s4, v47
	v_mov_b32_e32 v4, 0
	v_mov_b32_e32 v5, 0
	v_cmp_eq_u32_e64 s[4:5], s4, v47
	s_and_saveexec_b64 s[8:9], s[4:5]
	s_cbranch_execz .LBB3_12
; %bb.7:                                ;   in Loop: Header=BB3_3 Depth=1
	s_waitcnt lgkmcnt(0)
	global_load_dwordx2 v[2:3], v54, s[6:7] offset:24 glc
	s_waitcnt vmcnt(0)
	buffer_wbinvl1_vol
	global_load_dwordx2 v[0:1], v54, s[6:7] offset:40
	global_load_dwordx2 v[4:5], v54, s[6:7]
	s_waitcnt vmcnt(1)
	v_and_b32_e32 v0, v0, v2
	v_and_b32_e32 v1, v1, v3
	v_mul_lo_u32 v1, v1, 24
	v_mul_hi_u32 v6, v0, 24
	v_mul_lo_u32 v0, v0, 24
	v_add_u32_e32 v1, v6, v1
	s_waitcnt vmcnt(0)
	v_add_co_u32_e32 v0, vcc, v4, v0
	v_addc_co_u32_e32 v1, vcc, v5, v1, vcc
	global_load_dwordx2 v[0:1], v[0:1], off glc
	s_waitcnt vmcnt(0)
	global_atomic_cmpswap_x2 v[4:5], v54, v[0:3], s[6:7] offset:24 glc
	s_waitcnt vmcnt(0)
	buffer_wbinvl1_vol
	v_cmp_ne_u64_e32 vcc, v[4:5], v[2:3]
	s_and_saveexec_b64 s[10:11], vcc
	s_cbranch_execz .LBB3_11
; %bb.8:                                ;   in Loop: Header=BB3_3 Depth=1
	s_mov_b64 s[12:13], 0
.LBB3_9:                                ;   Parent Loop BB3_3 Depth=1
                                        ; =>  This Inner Loop Header: Depth=2
	s_sleep 1
	global_load_dwordx2 v[0:1], v54, s[6:7] offset:40
	global_load_dwordx2 v[6:7], v54, s[6:7]
	v_mov_b32_e32 v2, v4
	v_mov_b32_e32 v3, v5
	s_waitcnt vmcnt(1)
	v_and_b32_e32 v0, v0, v2
	s_waitcnt vmcnt(0)
	v_mad_u64_u32 v[4:5], s[14:15], v0, 24, v[6:7]
	v_and_b32_e32 v1, v1, v3
	v_mov_b32_e32 v0, v5
	v_mad_u64_u32 v[0:1], s[14:15], v1, 24, v[0:1]
	v_mov_b32_e32 v5, v0
	global_load_dwordx2 v[0:1], v[4:5], off glc
	s_waitcnt vmcnt(0)
	global_atomic_cmpswap_x2 v[4:5], v54, v[0:3], s[6:7] offset:24 glc
	s_waitcnt vmcnt(0)
	buffer_wbinvl1_vol
	v_cmp_eq_u64_e32 vcc, v[4:5], v[2:3]
	s_or_b64 s[12:13], vcc, s[12:13]
	s_andn2_b64 exec, exec, s[12:13]
	s_cbranch_execnz .LBB3_9
; %bb.10:                               ;   in Loop: Header=BB3_3 Depth=1
	s_or_b64 exec, exec, s[12:13]
.LBB3_11:                               ;   in Loop: Header=BB3_3 Depth=1
	s_or_b64 exec, exec, s[10:11]
.LBB3_12:                               ;   in Loop: Header=BB3_3 Depth=1
	s_or_b64 exec, exec, s[8:9]
	s_waitcnt lgkmcnt(0)
	global_load_dwordx2 v[6:7], v54, s[6:7] offset:40
	global_load_dwordx4 v[0:3], v54, s[6:7]
	v_readfirstlane_b32 s9, v5
	v_readfirstlane_b32 s8, v4
	s_mov_b64 s[10:11], exec
	s_waitcnt vmcnt(0)
	v_readfirstlane_b32 s12, v6
	v_readfirstlane_b32 s13, v7
	s_and_b64 s[12:13], s[12:13], s[8:9]
	s_mul_i32 s14, s13, 24
	s_mul_hi_u32 s15, s12, 24
	s_mul_i32 s16, s12, 24
	s_add_i32 s14, s15, s14
	v_mov_b32_e32 v5, s14
	v_add_co_u32_e32 v4, vcc, s16, v0
	v_addc_co_u32_e32 v5, vcc, v1, v5, vcc
	s_and_saveexec_b64 s[14:15], s[4:5]
	s_cbranch_execz .LBB3_14
; %bb.13:                               ;   in Loop: Header=BB3_3 Depth=1
	v_mov_b32_e32 v38, s11
	v_mov_b32_e32 v37, s10
	global_store_dwordx4 v[4:5], v[37:40], off offset:8
.LBB3_14:                               ;   in Loop: Header=BB3_3 Depth=1
	s_or_b64 exec, exec, s[14:15]
	s_lshl_b64 s[10:11], s[12:13], 12
	v_mov_b32_e32 v6, s11
	v_add_co_u32_e32 v8, vcc, s10, v2
	v_addc_co_u32_e32 v9, vcc, v3, v6, vcc
	s_mov_b32 s41, s40
	s_mov_b32 s42, s40
	;; [unrolled: 1-line block ×3, first 2 shown]
	v_mov_b32_e32 v10, s40
	v_lshlrev_b32_e32 v27, 6, v47
	v_mov_b32_e32 v53, v54
	v_mov_b32_e32 v55, v54
	v_readfirstlane_b32 s10, v8
	v_readfirstlane_b32 s11, v9
	v_mov_b32_e32 v11, s41
	v_mov_b32_e32 v12, s42
	;; [unrolled: 1-line block ×3, first 2 shown]
	s_nop 1
	global_store_dwordx4 v27, v[52:55], s[10:11]
	global_store_dwordx4 v27, v[10:13], s[10:11] offset:16
	global_store_dwordx4 v27, v[10:13], s[10:11] offset:32
	global_store_dwordx4 v27, v[10:13], s[10:11] offset:48
	s_and_saveexec_b64 s[10:11], s[4:5]
	s_cbranch_execz .LBB3_22
; %bb.15:                               ;   in Loop: Header=BB3_3 Depth=1
	global_load_dwordx2 v[12:13], v54, s[6:7] offset:32 glc
	global_load_dwordx2 v[2:3], v54, s[6:7] offset:40
	v_mov_b32_e32 v10, s8
	v_mov_b32_e32 v11, s9
	s_waitcnt vmcnt(0)
	v_and_b32_e32 v2, s8, v2
	v_and_b32_e32 v3, s9, v3
	v_mul_lo_u32 v3, v3, 24
	v_mul_hi_u32 v6, v2, 24
	v_mul_lo_u32 v2, v2, 24
	v_add_u32_e32 v3, v6, v3
	v_add_co_u32_e32 v6, vcc, v0, v2
	v_addc_co_u32_e32 v7, vcc, v1, v3, vcc
	global_store_dwordx2 v[6:7], v[12:13], off
	s_waitcnt vmcnt(0)
	global_atomic_cmpswap_x2 v[2:3], v54, v[10:13], s[6:7] offset:32 glc
	s_waitcnt vmcnt(0)
	v_cmp_ne_u64_e32 vcc, v[2:3], v[12:13]
	s_and_saveexec_b64 s[12:13], vcc
	s_cbranch_execz .LBB3_18
; %bb.16:                               ;   in Loop: Header=BB3_3 Depth=1
	s_mov_b64 s[14:15], 0
.LBB3_17:                               ;   Parent Loop BB3_3 Depth=1
                                        ; =>  This Inner Loop Header: Depth=2
	s_sleep 1
	global_store_dwordx2 v[6:7], v[2:3], off
	v_mov_b32_e32 v0, s8
	v_mov_b32_e32 v1, s9
	s_waitcnt vmcnt(0)
	global_atomic_cmpswap_x2 v[0:1], v54, v[0:3], s[6:7] offset:32 glc
	s_waitcnt vmcnt(0)
	v_cmp_eq_u64_e32 vcc, v[0:1], v[2:3]
	v_mov_b32_e32 v3, v1
	s_or_b64 s[14:15], vcc, s[14:15]
	v_mov_b32_e32 v2, v0
	s_andn2_b64 exec, exec, s[14:15]
	s_cbranch_execnz .LBB3_17
.LBB3_18:                               ;   in Loop: Header=BB3_3 Depth=1
	s_or_b64 exec, exec, s[12:13]
	global_load_dwordx2 v[0:1], v54, s[6:7] offset:16
	s_mov_b64 s[14:15], exec
	v_mbcnt_lo_u32_b32 v2, s14, 0
	v_mbcnt_hi_u32_b32 v2, s15, v2
	v_cmp_eq_u32_e32 vcc, 0, v2
	s_and_saveexec_b64 s[12:13], vcc
	s_cbranch_execz .LBB3_20
; %bb.19:                               ;   in Loop: Header=BB3_3 Depth=1
	s_bcnt1_i32_b64 s14, s[14:15]
	v_mov_b32_e32 v53, s14
	s_waitcnt vmcnt(0)
	global_atomic_add_x2 v[0:1], v[53:54], off offset:8
.LBB3_20:                               ;   in Loop: Header=BB3_3 Depth=1
	s_or_b64 exec, exec, s[12:13]
	s_waitcnt vmcnt(0)
	global_load_dwordx2 v[2:3], v[0:1], off offset:16
	s_waitcnt vmcnt(0)
	v_cmp_eq_u64_e32 vcc, 0, v[2:3]
	s_cbranch_vccnz .LBB3_22
; %bb.21:                               ;   in Loop: Header=BB3_3 Depth=1
	global_load_dword v53, v[0:1], off offset:24
	s_waitcnt vmcnt(0)
	v_readfirstlane_b32 s12, v53
	s_and_b32 m0, s12, 0xffffff
	global_store_dwordx2 v[2:3], v[53:54], off
	s_sendmsg sendmsg(MSG_INTERRUPT)
.LBB3_22:                               ;   in Loop: Header=BB3_3 Depth=1
	s_or_b64 exec, exec, s[10:11]
	v_add_co_u32_e32 v0, vcc, v8, v27
	v_addc_co_u32_e32 v1, vcc, 0, v9, vcc
	s_branch .LBB3_26
.LBB3_23:                               ;   in Loop: Header=BB3_26 Depth=2
	s_or_b64 exec, exec, s[10:11]
	v_readfirstlane_b32 s10, v2
	s_cmp_eq_u32 s10, 0
	s_cbranch_scc1 .LBB3_25
; %bb.24:                               ;   in Loop: Header=BB3_26 Depth=2
	s_sleep 1
	s_cbranch_execnz .LBB3_26
	s_branch .LBB3_28
.LBB3_25:                               ;   in Loop: Header=BB3_3 Depth=1
	s_branch .LBB3_28
.LBB3_26:                               ;   Parent Loop BB3_3 Depth=1
                                        ; =>  This Inner Loop Header: Depth=2
	v_mov_b32_e32 v2, 1
	s_and_saveexec_b64 s[10:11], s[4:5]
	s_cbranch_execz .LBB3_23
; %bb.27:                               ;   in Loop: Header=BB3_26 Depth=2
	global_load_dword v2, v[4:5], off offset:20 glc
	s_waitcnt vmcnt(0)
	buffer_wbinvl1_vol
	v_and_b32_e32 v2, 1, v2
	s_branch .LBB3_23
.LBB3_28:                               ;   in Loop: Header=BB3_3 Depth=1
	global_load_dwordx2 v[0:1], v[0:1], off
	s_and_saveexec_b64 s[10:11], s[4:5]
	s_cbranch_execz .LBB3_32
; %bb.29:                               ;   in Loop: Header=BB3_3 Depth=1
	global_load_dwordx2 v[2:3], v54, s[6:7] offset:40
	global_load_dwordx2 v[10:11], v54, s[6:7] offset:24 glc
	global_load_dwordx2 v[4:5], v54, s[6:7]
	s_waitcnt vmcnt(2)
	v_readfirstlane_b32 s12, v2
	v_readfirstlane_b32 s13, v3
	s_add_u32 s14, s12, 1
	s_addc_u32 s15, s13, 0
	s_add_u32 s4, s14, s8
	s_addc_u32 s5, s15, s9
	s_cmp_eq_u64 s[4:5], 0
	s_cselect_b32 s5, s15, s5
	s_cselect_b32 s4, s14, s4
	s_and_b64 s[8:9], s[4:5], s[12:13]
	s_mul_i32 s9, s9, 24
	s_mul_hi_u32 s12, s8, 24
	s_mul_i32 s8, s8, 24
	s_add_i32 s9, s12, s9
	v_mov_b32_e32 v2, s9
	s_waitcnt vmcnt(0)
	v_add_co_u32_e32 v6, vcc, s8, v4
	v_addc_co_u32_e32 v7, vcc, v5, v2, vcc
	v_mov_b32_e32 v8, s4
	global_store_dwordx2 v[6:7], v[10:11], off
	v_mov_b32_e32 v9, s5
	s_waitcnt vmcnt(0)
	global_atomic_cmpswap_x2 v[4:5], v54, v[8:11], s[6:7] offset:24 glc
	s_waitcnt vmcnt(0)
	v_cmp_ne_u64_e32 vcc, v[4:5], v[10:11]
	s_and_b64 exec, exec, vcc
	s_cbranch_execz .LBB3_32
; %bb.30:                               ;   in Loop: Header=BB3_3 Depth=1
	s_mov_b64 s[8:9], 0
.LBB3_31:                               ;   Parent Loop BB3_3 Depth=1
                                        ; =>  This Inner Loop Header: Depth=2
	s_sleep 1
	global_store_dwordx2 v[6:7], v[4:5], off
	v_mov_b32_e32 v2, s4
	v_mov_b32_e32 v3, s5
	s_waitcnt vmcnt(0)
	global_atomic_cmpswap_x2 v[2:3], v54, v[2:5], s[6:7] offset:24 glc
	s_waitcnt vmcnt(0)
	v_cmp_eq_u64_e32 vcc, v[2:3], v[4:5]
	v_mov_b32_e32 v5, v3
	s_or_b64 s[8:9], vcc, s[8:9]
	v_mov_b32_e32 v4, v2
	s_andn2_b64 exec, exec, s[8:9]
	s_cbranch_execnz .LBB3_31
.LBB3_32:                               ;   in Loop: Header=BB3_3 Depth=1
	s_or_b64 exec, exec, s[10:11]
	s_and_b64 vcc, exec, s[46:47]
	s_cbranch_vccz .LBB3_118
; %bb.33:                               ;   in Loop: Header=BB3_3 Depth=1
	s_waitcnt vmcnt(0)
	v_and_b32_e32 v28, 2, v0
	v_and_b32_e32 v2, -3, v0
	v_mov_b32_e32 v3, v1
	s_mov_b64 s[10:11], 45
	s_getpc_b64 s[8:9]
	s_add_u32 s8, s8, .str.5@rel32@lo+4
	s_addc_u32 s9, s9, .str.5@rel32@hi+12
	s_branch .LBB3_35
.LBB3_34:                               ;   in Loop: Header=BB3_35 Depth=2
	s_or_b64 exec, exec, s[16:17]
	s_sub_u32 s10, s10, s12
	s_subb_u32 s11, s11, s13
	s_add_u32 s8, s8, s12
	s_addc_u32 s9, s9, s13
	s_cmp_lg_u64 s[10:11], 0
	s_cbranch_scc0 .LBB3_117
.LBB3_35:                               ;   Parent Loop BB3_3 Depth=1
                                        ; =>  This Loop Header: Depth=2
                                        ;       Child Loop BB3_38 Depth 3
                                        ;       Child Loop BB3_46 Depth 3
	;; [unrolled: 1-line block ×11, first 2 shown]
	v_cmp_lt_u64_e64 s[4:5], s[10:11], 56
	v_cmp_gt_u64_e64 s[14:15], s[10:11], 7
	s_and_b64 s[4:5], s[4:5], exec
	s_cselect_b32 s13, s11, 0
	s_cselect_b32 s12, s10, 56
	s_add_u32 s4, s8, 8
	s_addc_u32 s5, s9, 0
	s_and_b64 vcc, exec, s[14:15]
	s_cbranch_vccnz .LBB3_39
; %bb.36:                               ;   in Loop: Header=BB3_35 Depth=2
	s_cmp_eq_u64 s[10:11], 0
	s_cbranch_scc1 .LBB3_40
; %bb.37:                               ;   in Loop: Header=BB3_35 Depth=2
	v_mov_b32_e32 v4, 0
	s_lshl_b64 s[4:5], s[12:13], 3
	s_mov_b64 s[14:15], 0
	v_mov_b32_e32 v5, 0
	s_mov_b64 s[16:17], s[8:9]
.LBB3_38:                               ;   Parent Loop BB3_3 Depth=1
                                        ;     Parent Loop BB3_35 Depth=2
                                        ; =>    This Inner Loop Header: Depth=3
	global_load_ubyte v6, v54, s[16:17]
	s_waitcnt vmcnt(0)
	v_and_b32_e32 v53, 0xffff, v6
	v_lshlrev_b64 v[6:7], s14, v[53:54]
	s_add_u32 s14, s14, 8
	s_addc_u32 s15, s15, 0
	s_add_u32 s16, s16, 1
	s_addc_u32 s17, s17, 0
	v_or_b32_e32 v4, v6, v4
	s_cmp_lg_u32 s4, s14
	v_or_b32_e32 v5, v7, v5
	s_cbranch_scc1 .LBB3_38
	s_branch .LBB3_41
.LBB3_39:                               ;   in Loop: Header=BB3_35 Depth=2
	s_mov_b32 s24, 0
	s_branch .LBB3_42
.LBB3_40:                               ;   in Loop: Header=BB3_35 Depth=2
	v_mov_b32_e32 v4, 0
	v_mov_b32_e32 v5, 0
.LBB3_41:                               ;   in Loop: Header=BB3_35 Depth=2
	s_mov_b64 s[4:5], s[8:9]
	s_mov_b32 s24, 0
	s_cbranch_execnz .LBB3_43
.LBB3_42:                               ;   in Loop: Header=BB3_35 Depth=2
	global_load_dwordx2 v[4:5], v54, s[8:9]
	s_add_i32 s24, s12, -8
.LBB3_43:                               ;   in Loop: Header=BB3_35 Depth=2
	s_add_u32 s14, s4, 8
	s_addc_u32 s15, s5, 0
	s_cmp_gt_u32 s24, 7
	s_cbranch_scc1 .LBB3_47
; %bb.44:                               ;   in Loop: Header=BB3_35 Depth=2
	s_cmp_eq_u32 s24, 0
	s_cbranch_scc1 .LBB3_48
; %bb.45:                               ;   in Loop: Header=BB3_35 Depth=2
	v_mov_b32_e32 v6, 0
	s_mov_b64 s[14:15], 0
	v_mov_b32_e32 v7, 0
	s_mov_b64 s[16:17], 0
.LBB3_46:                               ;   Parent Loop BB3_3 Depth=1
                                        ;     Parent Loop BB3_35 Depth=2
                                        ; =>    This Inner Loop Header: Depth=3
	s_add_u32 s42, s4, s16
	s_addc_u32 s43, s5, s17
	global_load_ubyte v8, v54, s[42:43]
	s_add_u32 s16, s16, 1
	s_addc_u32 s17, s17, 0
	s_waitcnt vmcnt(0)
	v_and_b32_e32 v53, 0xffff, v8
	v_lshlrev_b64 v[8:9], s14, v[53:54]
	s_add_u32 s14, s14, 8
	s_addc_u32 s15, s15, 0
	v_or_b32_e32 v6, v8, v6
	s_cmp_lg_u32 s24, s16
	v_or_b32_e32 v7, v9, v7
	s_cbranch_scc1 .LBB3_46
	s_branch .LBB3_49
.LBB3_47:                               ;   in Loop: Header=BB3_35 Depth=2
                                        ; implicit-def: $vgpr6_vgpr7
	s_mov_b32 s25, 0
	s_branch .LBB3_50
.LBB3_48:                               ;   in Loop: Header=BB3_35 Depth=2
	v_mov_b32_e32 v6, 0
	v_mov_b32_e32 v7, 0
.LBB3_49:                               ;   in Loop: Header=BB3_35 Depth=2
	s_mov_b64 s[14:15], s[4:5]
	s_mov_b32 s25, 0
	s_cbranch_execnz .LBB3_51
.LBB3_50:                               ;   in Loop: Header=BB3_35 Depth=2
	global_load_dwordx2 v[6:7], v54, s[4:5]
	s_add_i32 s25, s24, -8
.LBB3_51:                               ;   in Loop: Header=BB3_35 Depth=2
	s_add_u32 s4, s14, 8
	s_addc_u32 s5, s15, 0
	s_cmp_gt_u32 s25, 7
	s_cbranch_scc1 .LBB3_55
; %bb.52:                               ;   in Loop: Header=BB3_35 Depth=2
	s_cmp_eq_u32 s25, 0
	s_cbranch_scc1 .LBB3_56
; %bb.53:                               ;   in Loop: Header=BB3_35 Depth=2
	v_mov_b32_e32 v8, 0
	s_mov_b64 s[4:5], 0
	v_mov_b32_e32 v9, 0
	s_mov_b64 s[16:17], 0
.LBB3_54:                               ;   Parent Loop BB3_3 Depth=1
                                        ;     Parent Loop BB3_35 Depth=2
                                        ; =>    This Inner Loop Header: Depth=3
	s_add_u32 s42, s14, s16
	s_addc_u32 s43, s15, s17
	global_load_ubyte v10, v54, s[42:43]
	s_add_u32 s16, s16, 1
	s_addc_u32 s17, s17, 0
	s_waitcnt vmcnt(0)
	v_and_b32_e32 v53, 0xffff, v10
	v_lshlrev_b64 v[10:11], s4, v[53:54]
	s_add_u32 s4, s4, 8
	s_addc_u32 s5, s5, 0
	v_or_b32_e32 v8, v10, v8
	s_cmp_lg_u32 s25, s16
	v_or_b32_e32 v9, v11, v9
	s_cbranch_scc1 .LBB3_54
	s_branch .LBB3_57
.LBB3_55:                               ;   in Loop: Header=BB3_35 Depth=2
	s_mov_b32 s24, 0
	s_branch .LBB3_58
.LBB3_56:                               ;   in Loop: Header=BB3_35 Depth=2
	v_mov_b32_e32 v8, 0
	v_mov_b32_e32 v9, 0
.LBB3_57:                               ;   in Loop: Header=BB3_35 Depth=2
	s_mov_b64 s[4:5], s[14:15]
	s_mov_b32 s24, 0
	s_cbranch_execnz .LBB3_59
.LBB3_58:                               ;   in Loop: Header=BB3_35 Depth=2
	global_load_dwordx2 v[8:9], v54, s[14:15]
	s_add_i32 s24, s25, -8
.LBB3_59:                               ;   in Loop: Header=BB3_35 Depth=2
	s_add_u32 s14, s4, 8
	s_addc_u32 s15, s5, 0
	s_cmp_gt_u32 s24, 7
	s_cbranch_scc1 .LBB3_63
; %bb.60:                               ;   in Loop: Header=BB3_35 Depth=2
	s_cmp_eq_u32 s24, 0
	s_cbranch_scc1 .LBB3_64
; %bb.61:                               ;   in Loop: Header=BB3_35 Depth=2
	v_mov_b32_e32 v10, 0
	s_mov_b64 s[14:15], 0
	v_mov_b32_e32 v11, 0
	s_mov_b64 s[16:17], 0
.LBB3_62:                               ;   Parent Loop BB3_3 Depth=1
                                        ;     Parent Loop BB3_35 Depth=2
                                        ; =>    This Inner Loop Header: Depth=3
	s_add_u32 s42, s4, s16
	s_addc_u32 s43, s5, s17
	global_load_ubyte v12, v54, s[42:43]
	s_add_u32 s16, s16, 1
	s_addc_u32 s17, s17, 0
	s_waitcnt vmcnt(0)
	v_and_b32_e32 v53, 0xffff, v12
	v_lshlrev_b64 v[12:13], s14, v[53:54]
	s_add_u32 s14, s14, 8
	s_addc_u32 s15, s15, 0
	v_or_b32_e32 v10, v12, v10
	s_cmp_lg_u32 s24, s16
	v_or_b32_e32 v11, v13, v11
	s_cbranch_scc1 .LBB3_62
	s_branch .LBB3_65
.LBB3_63:                               ;   in Loop: Header=BB3_35 Depth=2
                                        ; implicit-def: $vgpr10_vgpr11
	s_mov_b32 s25, 0
	s_branch .LBB3_66
.LBB3_64:                               ;   in Loop: Header=BB3_35 Depth=2
	v_mov_b32_e32 v10, 0
	v_mov_b32_e32 v11, 0
.LBB3_65:                               ;   in Loop: Header=BB3_35 Depth=2
	s_mov_b64 s[14:15], s[4:5]
	s_mov_b32 s25, 0
	s_cbranch_execnz .LBB3_67
.LBB3_66:                               ;   in Loop: Header=BB3_35 Depth=2
	global_load_dwordx2 v[10:11], v54, s[4:5]
	s_add_i32 s25, s24, -8
.LBB3_67:                               ;   in Loop: Header=BB3_35 Depth=2
	s_add_u32 s4, s14, 8
	s_addc_u32 s5, s15, 0
	s_cmp_gt_u32 s25, 7
	s_cbranch_scc1 .LBB3_71
; %bb.68:                               ;   in Loop: Header=BB3_35 Depth=2
	s_cmp_eq_u32 s25, 0
	s_cbranch_scc1 .LBB3_72
; %bb.69:                               ;   in Loop: Header=BB3_35 Depth=2
	v_mov_b32_e32 v12, 0
	s_mov_b64 s[4:5], 0
	v_mov_b32_e32 v13, 0
	s_mov_b64 s[16:17], 0
.LBB3_70:                               ;   Parent Loop BB3_3 Depth=1
                                        ;     Parent Loop BB3_35 Depth=2
                                        ; =>    This Inner Loop Header: Depth=3
	s_add_u32 s42, s14, s16
	s_addc_u32 s43, s15, s17
	global_load_ubyte v14, v54, s[42:43]
	s_add_u32 s16, s16, 1
	s_addc_u32 s17, s17, 0
	s_waitcnt vmcnt(0)
	v_and_b32_e32 v53, 0xffff, v14
	v_lshlrev_b64 v[14:15], s4, v[53:54]
	s_add_u32 s4, s4, 8
	s_addc_u32 s5, s5, 0
	v_or_b32_e32 v12, v14, v12
	s_cmp_lg_u32 s25, s16
	v_or_b32_e32 v13, v15, v13
	s_cbranch_scc1 .LBB3_70
	s_branch .LBB3_73
.LBB3_71:                               ;   in Loop: Header=BB3_35 Depth=2
	s_mov_b32 s24, 0
	s_branch .LBB3_74
.LBB3_72:                               ;   in Loop: Header=BB3_35 Depth=2
	v_mov_b32_e32 v12, 0
	v_mov_b32_e32 v13, 0
.LBB3_73:                               ;   in Loop: Header=BB3_35 Depth=2
	s_mov_b64 s[4:5], s[14:15]
	s_mov_b32 s24, 0
	s_cbranch_execnz .LBB3_75
.LBB3_74:                               ;   in Loop: Header=BB3_35 Depth=2
	global_load_dwordx2 v[12:13], v54, s[14:15]
	s_add_i32 s24, s25, -8
.LBB3_75:                               ;   in Loop: Header=BB3_35 Depth=2
	s_add_u32 s14, s4, 8
	s_addc_u32 s15, s5, 0
	s_cmp_gt_u32 s24, 7
	s_cbranch_scc1 .LBB3_79
; %bb.76:                               ;   in Loop: Header=BB3_35 Depth=2
	s_cmp_eq_u32 s24, 0
	s_cbranch_scc1 .LBB3_80
; %bb.77:                               ;   in Loop: Header=BB3_35 Depth=2
	v_mov_b32_e32 v14, 0
	s_mov_b64 s[14:15], 0
	v_mov_b32_e32 v15, 0
	s_mov_b64 s[16:17], 0
.LBB3_78:                               ;   Parent Loop BB3_3 Depth=1
                                        ;     Parent Loop BB3_35 Depth=2
                                        ; =>    This Inner Loop Header: Depth=3
	s_add_u32 s42, s4, s16
	s_addc_u32 s43, s5, s17
	global_load_ubyte v16, v54, s[42:43]
	s_add_u32 s16, s16, 1
	s_addc_u32 s17, s17, 0
	s_waitcnt vmcnt(0)
	v_and_b32_e32 v53, 0xffff, v16
	v_lshlrev_b64 v[16:17], s14, v[53:54]
	s_add_u32 s14, s14, 8
	s_addc_u32 s15, s15, 0
	v_or_b32_e32 v14, v16, v14
	s_cmp_lg_u32 s24, s16
	v_or_b32_e32 v15, v17, v15
	s_cbranch_scc1 .LBB3_78
	s_branch .LBB3_81
.LBB3_79:                               ;   in Loop: Header=BB3_35 Depth=2
                                        ; implicit-def: $vgpr14_vgpr15
	s_mov_b32 s25, 0
	s_branch .LBB3_82
.LBB3_80:                               ;   in Loop: Header=BB3_35 Depth=2
	v_mov_b32_e32 v14, 0
	v_mov_b32_e32 v15, 0
.LBB3_81:                               ;   in Loop: Header=BB3_35 Depth=2
	s_mov_b64 s[14:15], s[4:5]
	s_mov_b32 s25, 0
	s_cbranch_execnz .LBB3_83
.LBB3_82:                               ;   in Loop: Header=BB3_35 Depth=2
	global_load_dwordx2 v[14:15], v54, s[4:5]
	s_add_i32 s25, s24, -8
.LBB3_83:                               ;   in Loop: Header=BB3_35 Depth=2
	s_cmp_gt_u32 s25, 7
	s_cbranch_scc1 .LBB3_87
; %bb.84:                               ;   in Loop: Header=BB3_35 Depth=2
	s_cmp_eq_u32 s25, 0
	s_cbranch_scc1 .LBB3_88
; %bb.85:                               ;   in Loop: Header=BB3_35 Depth=2
	v_mov_b32_e32 v16, 0
	s_mov_b64 s[4:5], 0
	v_mov_b32_e32 v17, 0
	s_mov_b64 s[16:17], s[14:15]
.LBB3_86:                               ;   Parent Loop BB3_3 Depth=1
                                        ;     Parent Loop BB3_35 Depth=2
                                        ; =>    This Inner Loop Header: Depth=3
	global_load_ubyte v18, v54, s[16:17]
	s_add_i32 s25, s25, -1
	s_waitcnt vmcnt(0)
	v_and_b32_e32 v53, 0xffff, v18
	v_lshlrev_b64 v[18:19], s4, v[53:54]
	s_add_u32 s4, s4, 8
	s_addc_u32 s5, s5, 0
	s_add_u32 s16, s16, 1
	s_addc_u32 s17, s17, 0
	v_or_b32_e32 v16, v18, v16
	s_cmp_lg_u32 s25, 0
	v_or_b32_e32 v17, v19, v17
	s_cbranch_scc1 .LBB3_86
	s_branch .LBB3_89
.LBB3_87:                               ;   in Loop: Header=BB3_35 Depth=2
	s_branch .LBB3_90
.LBB3_88:                               ;   in Loop: Header=BB3_35 Depth=2
	v_mov_b32_e32 v16, 0
	v_mov_b32_e32 v17, 0
.LBB3_89:                               ;   in Loop: Header=BB3_35 Depth=2
	s_cbranch_execnz .LBB3_91
.LBB3_90:                               ;   in Loop: Header=BB3_35 Depth=2
	global_load_dwordx2 v[16:17], v54, s[14:15]
.LBB3_91:                               ;   in Loop: Header=BB3_35 Depth=2
	v_readfirstlane_b32 s4, v47
	v_mov_b32_e32 v22, 0
	v_mov_b32_e32 v23, 0
	v_cmp_eq_u32_e64 s[4:5], s4, v47
	s_and_saveexec_b64 s[14:15], s[4:5]
	s_cbranch_execz .LBB3_97
; %bb.92:                               ;   in Loop: Header=BB3_35 Depth=2
	global_load_dwordx2 v[20:21], v54, s[6:7] offset:24 glc
	s_waitcnt vmcnt(0)
	buffer_wbinvl1_vol
	global_load_dwordx2 v[18:19], v54, s[6:7] offset:40
	global_load_dwordx2 v[22:23], v54, s[6:7]
	s_waitcnt vmcnt(1)
	v_and_b32_e32 v18, v18, v20
	v_and_b32_e32 v19, v19, v21
	v_mul_lo_u32 v19, v19, 24
	v_mul_hi_u32 v29, v18, 24
	v_mul_lo_u32 v18, v18, 24
	v_add_u32_e32 v19, v29, v19
	s_waitcnt vmcnt(0)
	v_add_co_u32_e32 v18, vcc, v22, v18
	v_addc_co_u32_e32 v19, vcc, v23, v19, vcc
	global_load_dwordx2 v[18:19], v[18:19], off glc
	s_waitcnt vmcnt(0)
	global_atomic_cmpswap_x2 v[22:23], v54, v[18:21], s[6:7] offset:24 glc
	s_waitcnt vmcnt(0)
	buffer_wbinvl1_vol
	v_cmp_ne_u64_e32 vcc, v[22:23], v[20:21]
	s_and_saveexec_b64 s[16:17], vcc
	s_cbranch_execz .LBB3_96
; %bb.93:                               ;   in Loop: Header=BB3_35 Depth=2
	s_mov_b64 s[24:25], 0
.LBB3_94:                               ;   Parent Loop BB3_3 Depth=1
                                        ;     Parent Loop BB3_35 Depth=2
                                        ; =>    This Inner Loop Header: Depth=3
	s_sleep 1
	global_load_dwordx2 v[18:19], v54, s[6:7] offset:40
	global_load_dwordx2 v[29:30], v54, s[6:7]
	v_mov_b32_e32 v20, v22
	v_mov_b32_e32 v21, v23
	s_waitcnt vmcnt(1)
	v_and_b32_e32 v18, v18, v20
	s_waitcnt vmcnt(0)
	v_mad_u64_u32 v[22:23], s[42:43], v18, 24, v[29:30]
	v_and_b32_e32 v19, v19, v21
	v_mov_b32_e32 v18, v23
	v_mad_u64_u32 v[18:19], s[42:43], v19, 24, v[18:19]
	v_mov_b32_e32 v23, v18
	global_load_dwordx2 v[18:19], v[22:23], off glc
	s_waitcnt vmcnt(0)
	global_atomic_cmpswap_x2 v[22:23], v54, v[18:21], s[6:7] offset:24 glc
	s_waitcnt vmcnt(0)
	buffer_wbinvl1_vol
	v_cmp_eq_u64_e32 vcc, v[22:23], v[20:21]
	s_or_b64 s[24:25], vcc, s[24:25]
	s_andn2_b64 exec, exec, s[24:25]
	s_cbranch_execnz .LBB3_94
; %bb.95:                               ;   in Loop: Header=BB3_35 Depth=2
	s_or_b64 exec, exec, s[24:25]
.LBB3_96:                               ;   in Loop: Header=BB3_35 Depth=2
	s_or_b64 exec, exec, s[16:17]
.LBB3_97:                               ;   in Loop: Header=BB3_35 Depth=2
	s_or_b64 exec, exec, s[14:15]
	global_load_dwordx2 v[29:30], v54, s[6:7] offset:40
	global_load_dwordx4 v[18:21], v54, s[6:7]
	v_readfirstlane_b32 s15, v23
	v_readfirstlane_b32 s14, v22
	s_mov_b64 s[16:17], exec
	s_waitcnt vmcnt(1)
	v_readfirstlane_b32 s24, v29
	v_readfirstlane_b32 s25, v30
	s_and_b64 s[24:25], s[24:25], s[14:15]
	s_mul_i32 s41, s25, 24
	s_mul_hi_u32 s42, s24, 24
	s_mul_i32 s43, s24, 24
	s_add_i32 s41, s42, s41
	v_mov_b32_e32 v23, s41
	s_waitcnt vmcnt(0)
	v_add_co_u32_e32 v22, vcc, s43, v18
	v_addc_co_u32_e32 v23, vcc, v19, v23, vcc
	s_and_saveexec_b64 s[42:43], s[4:5]
	s_cbranch_execz .LBB3_99
; %bb.98:                               ;   in Loop: Header=BB3_35 Depth=2
	v_mov_b32_e32 v38, s17
	v_mov_b32_e32 v37, s16
	global_store_dwordx4 v[22:23], v[37:40], off offset:8
.LBB3_99:                               ;   in Loop: Header=BB3_35 Depth=2
	s_or_b64 exec, exec, s[42:43]
	s_lshl_b64 s[16:17], s[24:25], 12
	v_mov_b32_e32 v29, s17
	v_add_co_u32_e32 v20, vcc, s16, v20
	v_addc_co_u32_e32 v21, vcc, v21, v29, vcc
	v_cmp_lt_u64_e64 vcc, s[10:11], 57
	s_lshl_b32 s16, s12, 2
	v_cndmask_b32_e32 v29, 0, v28, vcc
	s_add_i32 s16, s16, 28
	v_and_b32_e32 v2, 0xffffff1f, v2
	s_and_b32 s16, s16, 0x1e0
	v_or_b32_e32 v2, v2, v29
	v_or_b32_e32 v2, s16, v2
	v_readfirstlane_b32 s16, v20
	v_readfirstlane_b32 s17, v21
	s_nop 4
	global_store_dwordx4 v27, v[2:5], s[16:17]
	global_store_dwordx4 v27, v[6:9], s[16:17] offset:16
	global_store_dwordx4 v27, v[10:13], s[16:17] offset:32
	;; [unrolled: 1-line block ×3, first 2 shown]
	s_and_saveexec_b64 s[16:17], s[4:5]
	s_cbranch_execz .LBB3_107
; %bb.100:                              ;   in Loop: Header=BB3_35 Depth=2
	global_load_dwordx2 v[10:11], v54, s[6:7] offset:32 glc
	global_load_dwordx2 v[2:3], v54, s[6:7] offset:40
	v_mov_b32_e32 v8, s14
	v_mov_b32_e32 v9, s15
	s_waitcnt vmcnt(0)
	v_readfirstlane_b32 s24, v2
	v_readfirstlane_b32 s25, v3
	s_and_b64 s[24:25], s[24:25], s[14:15]
	s_mul_i32 s25, s25, 24
	s_mul_hi_u32 s41, s24, 24
	s_mul_i32 s24, s24, 24
	s_add_i32 s25, s41, s25
	v_mov_b32_e32 v2, s25
	v_add_co_u32_e32 v6, vcc, s24, v18
	v_addc_co_u32_e32 v7, vcc, v19, v2, vcc
	global_store_dwordx2 v[6:7], v[10:11], off
	s_waitcnt vmcnt(0)
	global_atomic_cmpswap_x2 v[4:5], v54, v[8:11], s[6:7] offset:32 glc
	s_waitcnt vmcnt(0)
	v_cmp_ne_u64_e32 vcc, v[4:5], v[10:11]
	s_and_saveexec_b64 s[24:25], vcc
	s_cbranch_execz .LBB3_103
; %bb.101:                              ;   in Loop: Header=BB3_35 Depth=2
	s_mov_b64 s[42:43], 0
.LBB3_102:                              ;   Parent Loop BB3_3 Depth=1
                                        ;     Parent Loop BB3_35 Depth=2
                                        ; =>    This Inner Loop Header: Depth=3
	s_sleep 1
	global_store_dwordx2 v[6:7], v[4:5], off
	v_mov_b32_e32 v2, s14
	v_mov_b32_e32 v3, s15
	s_waitcnt vmcnt(0)
	global_atomic_cmpswap_x2 v[2:3], v54, v[2:5], s[6:7] offset:32 glc
	s_waitcnt vmcnt(0)
	v_cmp_eq_u64_e32 vcc, v[2:3], v[4:5]
	v_mov_b32_e32 v5, v3
	s_or_b64 s[42:43], vcc, s[42:43]
	v_mov_b32_e32 v4, v2
	s_andn2_b64 exec, exec, s[42:43]
	s_cbranch_execnz .LBB3_102
.LBB3_103:                              ;   in Loop: Header=BB3_35 Depth=2
	s_or_b64 exec, exec, s[24:25]
	global_load_dwordx2 v[2:3], v54, s[6:7] offset:16
	s_mov_b64 s[42:43], exec
	v_mbcnt_lo_u32_b32 v4, s42, 0
	v_mbcnt_hi_u32_b32 v4, s43, v4
	v_cmp_eq_u32_e32 vcc, 0, v4
	s_and_saveexec_b64 s[24:25], vcc
	s_cbranch_execz .LBB3_105
; %bb.104:                              ;   in Loop: Header=BB3_35 Depth=2
	s_bcnt1_i32_b64 s41, s[42:43]
	v_mov_b32_e32 v53, s41
	s_waitcnt vmcnt(0)
	global_atomic_add_x2 v[2:3], v[53:54], off offset:8
.LBB3_105:                              ;   in Loop: Header=BB3_35 Depth=2
	s_or_b64 exec, exec, s[24:25]
	s_waitcnt vmcnt(0)
	global_load_dwordx2 v[4:5], v[2:3], off offset:16
	s_waitcnt vmcnt(0)
	v_cmp_eq_u64_e32 vcc, 0, v[4:5]
	s_cbranch_vccnz .LBB3_107
; %bb.106:                              ;   in Loop: Header=BB3_35 Depth=2
	global_load_dword v53, v[2:3], off offset:24
	s_waitcnt vmcnt(0)
	v_readfirstlane_b32 s24, v53
	s_and_b32 m0, s24, 0xffffff
	global_store_dwordx2 v[4:5], v[53:54], off
	s_sendmsg sendmsg(MSG_INTERRUPT)
.LBB3_107:                              ;   in Loop: Header=BB3_35 Depth=2
	s_or_b64 exec, exec, s[16:17]
	v_add_co_u32_e32 v2, vcc, v20, v27
	v_addc_co_u32_e32 v3, vcc, 0, v21, vcc
	s_branch .LBB3_111
.LBB3_108:                              ;   in Loop: Header=BB3_111 Depth=3
	s_or_b64 exec, exec, s[16:17]
	v_readfirstlane_b32 s16, v4
	s_cmp_eq_u32 s16, 0
	s_cbranch_scc1 .LBB3_110
; %bb.109:                              ;   in Loop: Header=BB3_111 Depth=3
	s_sleep 1
	s_cbranch_execnz .LBB3_111
	s_branch .LBB3_113
.LBB3_110:                              ;   in Loop: Header=BB3_35 Depth=2
	s_branch .LBB3_113
.LBB3_111:                              ;   Parent Loop BB3_3 Depth=1
                                        ;     Parent Loop BB3_35 Depth=2
                                        ; =>    This Inner Loop Header: Depth=3
	v_mov_b32_e32 v4, 1
	s_and_saveexec_b64 s[16:17], s[4:5]
	s_cbranch_execz .LBB3_108
; %bb.112:                              ;   in Loop: Header=BB3_111 Depth=3
	global_load_dword v4, v[22:23], off offset:20 glc
	s_waitcnt vmcnt(0)
	buffer_wbinvl1_vol
	v_and_b32_e32 v4, 1, v4
	s_branch .LBB3_108
.LBB3_113:                              ;   in Loop: Header=BB3_35 Depth=2
	global_load_dwordx2 v[2:3], v[2:3], off
	s_and_saveexec_b64 s[16:17], s[4:5]
	s_cbranch_execz .LBB3_34
; %bb.114:                              ;   in Loop: Header=BB3_35 Depth=2
	global_load_dwordx2 v[4:5], v54, s[6:7] offset:40
	global_load_dwordx2 v[12:13], v54, s[6:7] offset:24 glc
	global_load_dwordx2 v[6:7], v54, s[6:7]
	s_waitcnt vmcnt(2)
	v_readfirstlane_b32 s24, v4
	v_readfirstlane_b32 s25, v5
	s_add_u32 s41, s24, 1
	s_addc_u32 s42, s25, 0
	s_add_u32 s4, s41, s14
	s_addc_u32 s5, s42, s15
	s_cmp_eq_u64 s[4:5], 0
	s_cselect_b32 s5, s42, s5
	s_cselect_b32 s4, s41, s4
	s_and_b64 s[14:15], s[4:5], s[24:25]
	s_mul_i32 s15, s15, 24
	s_mul_hi_u32 s24, s14, 24
	s_mul_i32 s14, s14, 24
	s_add_i32 s15, s24, s15
	v_mov_b32_e32 v4, s15
	s_waitcnt vmcnt(0)
	v_add_co_u32_e32 v8, vcc, s14, v6
	v_addc_co_u32_e32 v9, vcc, v7, v4, vcc
	v_mov_b32_e32 v10, s4
	global_store_dwordx2 v[8:9], v[12:13], off
	v_mov_b32_e32 v11, s5
	s_waitcnt vmcnt(0)
	global_atomic_cmpswap_x2 v[6:7], v54, v[10:13], s[6:7] offset:24 glc
	s_waitcnt vmcnt(0)
	v_cmp_ne_u64_e32 vcc, v[6:7], v[12:13]
	s_and_b64 exec, exec, vcc
	s_cbranch_execz .LBB3_34
; %bb.115:                              ;   in Loop: Header=BB3_35 Depth=2
	s_mov_b64 s[14:15], 0
.LBB3_116:                              ;   Parent Loop BB3_3 Depth=1
                                        ;     Parent Loop BB3_35 Depth=2
                                        ; =>    This Inner Loop Header: Depth=3
	s_sleep 1
	global_store_dwordx2 v[8:9], v[6:7], off
	v_mov_b32_e32 v4, s4
	v_mov_b32_e32 v5, s5
	s_waitcnt vmcnt(0)
	global_atomic_cmpswap_x2 v[4:5], v54, v[4:7], s[6:7] offset:24 glc
	s_waitcnt vmcnt(0)
	v_cmp_eq_u64_e32 vcc, v[4:5], v[6:7]
	v_mov_b32_e32 v7, v5
	s_or_b64 s[14:15], vcc, s[14:15]
	v_mov_b32_e32 v6, v4
	s_andn2_b64 exec, exec, s[14:15]
	s_cbranch_execnz .LBB3_116
	s_branch .LBB3_34
.LBB3_117:                              ;   in Loop: Header=BB3_3 Depth=1
	s_branch .LBB3_146
.LBB3_118:                              ;   in Loop: Header=BB3_3 Depth=1
                                        ; implicit-def: $vgpr2_vgpr3
	s_cbranch_execz .LBB3_146
; %bb.119:                              ;   in Loop: Header=BB3_3 Depth=1
	v_readfirstlane_b32 s4, v47
	s_waitcnt vmcnt(0)
	v_mov_b32_e32 v2, 0
	v_mov_b32_e32 v3, 0
	v_cmp_eq_u32_e64 s[4:5], s4, v47
	s_and_saveexec_b64 s[8:9], s[4:5]
	s_cbranch_execz .LBB3_125
; %bb.120:                              ;   in Loop: Header=BB3_3 Depth=1
	global_load_dwordx2 v[4:5], v54, s[6:7] offset:24 glc
	s_waitcnt vmcnt(0)
	buffer_wbinvl1_vol
	global_load_dwordx2 v[2:3], v54, s[6:7] offset:40
	global_load_dwordx2 v[6:7], v54, s[6:7]
	s_waitcnt vmcnt(1)
	v_and_b32_e32 v2, v2, v4
	v_and_b32_e32 v3, v3, v5
	v_mul_lo_u32 v3, v3, 24
	v_mul_hi_u32 v8, v2, 24
	v_mul_lo_u32 v2, v2, 24
	v_add_u32_e32 v3, v8, v3
	s_waitcnt vmcnt(0)
	v_add_co_u32_e32 v2, vcc, v6, v2
	v_addc_co_u32_e32 v3, vcc, v7, v3, vcc
	global_load_dwordx2 v[2:3], v[2:3], off glc
	s_waitcnt vmcnt(0)
	global_atomic_cmpswap_x2 v[2:3], v54, v[2:5], s[6:7] offset:24 glc
	s_waitcnt vmcnt(0)
	buffer_wbinvl1_vol
	v_cmp_ne_u64_e32 vcc, v[2:3], v[4:5]
	s_and_saveexec_b64 s[10:11], vcc
	s_cbranch_execz .LBB3_124
; %bb.121:                              ;   in Loop: Header=BB3_3 Depth=1
	s_mov_b64 s[12:13], 0
.LBB3_122:                              ;   Parent Loop BB3_3 Depth=1
                                        ; =>  This Inner Loop Header: Depth=2
	s_sleep 1
	global_load_dwordx2 v[6:7], v54, s[6:7] offset:40
	global_load_dwordx2 v[8:9], v54, s[6:7]
	v_mov_b32_e32 v5, v3
	v_mov_b32_e32 v4, v2
	s_waitcnt vmcnt(1)
	v_and_b32_e32 v2, v6, v4
	s_waitcnt vmcnt(0)
	v_mad_u64_u32 v[2:3], s[14:15], v2, 24, v[8:9]
	v_and_b32_e32 v6, v7, v5
	v_mad_u64_u32 v[6:7], s[14:15], v6, 24, v[3:4]
	v_mov_b32_e32 v3, v6
	global_load_dwordx2 v[2:3], v[2:3], off glc
	s_waitcnt vmcnt(0)
	global_atomic_cmpswap_x2 v[2:3], v54, v[2:5], s[6:7] offset:24 glc
	s_waitcnt vmcnt(0)
	buffer_wbinvl1_vol
	v_cmp_eq_u64_e32 vcc, v[2:3], v[4:5]
	s_or_b64 s[12:13], vcc, s[12:13]
	s_andn2_b64 exec, exec, s[12:13]
	s_cbranch_execnz .LBB3_122
; %bb.123:                              ;   in Loop: Header=BB3_3 Depth=1
	s_or_b64 exec, exec, s[12:13]
.LBB3_124:                              ;   in Loop: Header=BB3_3 Depth=1
	s_or_b64 exec, exec, s[10:11]
.LBB3_125:                              ;   in Loop: Header=BB3_3 Depth=1
	s_or_b64 exec, exec, s[8:9]
	global_load_dwordx2 v[8:9], v54, s[6:7] offset:40
	global_load_dwordx4 v[4:7], v54, s[6:7]
	v_readfirstlane_b32 s9, v3
	v_readfirstlane_b32 s8, v2
	s_mov_b64 s[10:11], exec
	s_waitcnt vmcnt(1)
	v_readfirstlane_b32 s12, v8
	v_readfirstlane_b32 s13, v9
	s_and_b64 s[12:13], s[12:13], s[8:9]
	s_mul_i32 s14, s13, 24
	s_mul_hi_u32 s15, s12, 24
	s_mul_i32 s16, s12, 24
	s_add_i32 s14, s15, s14
	v_mov_b32_e32 v2, s14
	s_waitcnt vmcnt(0)
	v_add_co_u32_e32 v8, vcc, s16, v4
	v_addc_co_u32_e32 v9, vcc, v5, v2, vcc
	s_and_saveexec_b64 s[14:15], s[4:5]
	s_cbranch_execz .LBB3_127
; %bb.126:                              ;   in Loop: Header=BB3_3 Depth=1
	v_mov_b32_e32 v38, s11
	v_mov_b32_e32 v37, s10
	global_store_dwordx4 v[8:9], v[37:40], off offset:8
.LBB3_127:                              ;   in Loop: Header=BB3_3 Depth=1
	s_or_b64 exec, exec, s[14:15]
	s_lshl_b64 s[10:11], s[12:13], 12
	v_mov_b32_e32 v2, s11
	v_add_co_u32_e32 v6, vcc, s10, v6
	v_addc_co_u32_e32 v7, vcc, v7, v2, vcc
	v_and_or_b32 v0, v0, s48, 32
	v_mov_b32_e32 v2, v54
	v_mov_b32_e32 v3, v54
	v_readfirstlane_b32 s10, v6
	v_readfirstlane_b32 s11, v7
	s_mov_b32 s41, s40
	s_mov_b32 s42, s40
	;; [unrolled: 1-line block ×3, first 2 shown]
	s_nop 1
	global_store_dwordx4 v27, v[0:3], s[10:11]
	s_nop 0
	v_mov_b32_e32 v0, s40
	v_mov_b32_e32 v1, s41
	;; [unrolled: 1-line block ×4, first 2 shown]
	global_store_dwordx4 v27, v[0:3], s[10:11] offset:16
	global_store_dwordx4 v27, v[0:3], s[10:11] offset:32
	;; [unrolled: 1-line block ×3, first 2 shown]
	s_and_saveexec_b64 s[10:11], s[4:5]
	s_cbranch_execz .LBB3_135
; %bb.128:                              ;   in Loop: Header=BB3_3 Depth=1
	global_load_dwordx2 v[12:13], v54, s[6:7] offset:32 glc
	global_load_dwordx2 v[0:1], v54, s[6:7] offset:40
	v_mov_b32_e32 v10, s8
	v_mov_b32_e32 v11, s9
	s_waitcnt vmcnt(0)
	v_readfirstlane_b32 s12, v0
	v_readfirstlane_b32 s13, v1
	s_and_b64 s[12:13], s[12:13], s[8:9]
	s_mul_i32 s13, s13, 24
	s_mul_hi_u32 s14, s12, 24
	s_mul_i32 s12, s12, 24
	s_add_i32 s13, s14, s13
	v_mov_b32_e32 v0, s13
	v_add_co_u32_e32 v4, vcc, s12, v4
	v_addc_co_u32_e32 v5, vcc, v5, v0, vcc
	global_store_dwordx2 v[4:5], v[12:13], off
	s_waitcnt vmcnt(0)
	global_atomic_cmpswap_x2 v[2:3], v54, v[10:13], s[6:7] offset:32 glc
	s_waitcnt vmcnt(0)
	v_cmp_ne_u64_e32 vcc, v[2:3], v[12:13]
	s_and_saveexec_b64 s[12:13], vcc
	s_cbranch_execz .LBB3_131
; %bb.129:                              ;   in Loop: Header=BB3_3 Depth=1
	s_mov_b64 s[14:15], 0
.LBB3_130:                              ;   Parent Loop BB3_3 Depth=1
                                        ; =>  This Inner Loop Header: Depth=2
	s_sleep 1
	global_store_dwordx2 v[4:5], v[2:3], off
	v_mov_b32_e32 v0, s8
	v_mov_b32_e32 v1, s9
	s_waitcnt vmcnt(0)
	global_atomic_cmpswap_x2 v[0:1], v54, v[0:3], s[6:7] offset:32 glc
	s_waitcnt vmcnt(0)
	v_cmp_eq_u64_e32 vcc, v[0:1], v[2:3]
	v_mov_b32_e32 v3, v1
	s_or_b64 s[14:15], vcc, s[14:15]
	v_mov_b32_e32 v2, v0
	s_andn2_b64 exec, exec, s[14:15]
	s_cbranch_execnz .LBB3_130
.LBB3_131:                              ;   in Loop: Header=BB3_3 Depth=1
	s_or_b64 exec, exec, s[12:13]
	global_load_dwordx2 v[0:1], v54, s[6:7] offset:16
	s_mov_b64 s[14:15], exec
	v_mbcnt_lo_u32_b32 v2, s14, 0
	v_mbcnt_hi_u32_b32 v2, s15, v2
	v_cmp_eq_u32_e32 vcc, 0, v2
	s_and_saveexec_b64 s[12:13], vcc
	s_cbranch_execz .LBB3_133
; %bb.132:                              ;   in Loop: Header=BB3_3 Depth=1
	s_bcnt1_i32_b64 s14, s[14:15]
	v_mov_b32_e32 v53, s14
	s_waitcnt vmcnt(0)
	global_atomic_add_x2 v[0:1], v[53:54], off offset:8
.LBB3_133:                              ;   in Loop: Header=BB3_3 Depth=1
	s_or_b64 exec, exec, s[12:13]
	s_waitcnt vmcnt(0)
	global_load_dwordx2 v[2:3], v[0:1], off offset:16
	s_waitcnt vmcnt(0)
	v_cmp_eq_u64_e32 vcc, 0, v[2:3]
	s_cbranch_vccnz .LBB3_135
; %bb.134:                              ;   in Loop: Header=BB3_3 Depth=1
	global_load_dword v53, v[0:1], off offset:24
	s_waitcnt vmcnt(0)
	v_readfirstlane_b32 s12, v53
	s_and_b32 m0, s12, 0xffffff
	global_store_dwordx2 v[2:3], v[53:54], off
	s_sendmsg sendmsg(MSG_INTERRUPT)
.LBB3_135:                              ;   in Loop: Header=BB3_3 Depth=1
	s_or_b64 exec, exec, s[10:11]
	v_add_co_u32_e32 v0, vcc, v6, v27
	v_addc_co_u32_e32 v1, vcc, 0, v7, vcc
	s_branch .LBB3_139
.LBB3_136:                              ;   in Loop: Header=BB3_139 Depth=2
	s_or_b64 exec, exec, s[10:11]
	v_readfirstlane_b32 s10, v2
	s_cmp_eq_u32 s10, 0
	s_cbranch_scc1 .LBB3_138
; %bb.137:                              ;   in Loop: Header=BB3_139 Depth=2
	s_sleep 1
	s_cbranch_execnz .LBB3_139
	s_branch .LBB3_141
.LBB3_138:                              ;   in Loop: Header=BB3_3 Depth=1
	s_branch .LBB3_141
.LBB3_139:                              ;   Parent Loop BB3_3 Depth=1
                                        ; =>  This Inner Loop Header: Depth=2
	v_mov_b32_e32 v2, 1
	s_and_saveexec_b64 s[10:11], s[4:5]
	s_cbranch_execz .LBB3_136
; %bb.140:                              ;   in Loop: Header=BB3_139 Depth=2
	global_load_dword v2, v[8:9], off offset:20 glc
	s_waitcnt vmcnt(0)
	buffer_wbinvl1_vol
	v_and_b32_e32 v2, 1, v2
	s_branch .LBB3_136
.LBB3_141:                              ;   in Loop: Header=BB3_3 Depth=1
	global_load_dwordx2 v[2:3], v[0:1], off
	s_and_saveexec_b64 s[10:11], s[4:5]
	s_cbranch_execz .LBB3_145
; %bb.142:                              ;   in Loop: Header=BB3_3 Depth=1
	global_load_dwordx2 v[0:1], v54, s[6:7] offset:40
	global_load_dwordx2 v[8:9], v54, s[6:7] offset:24 glc
	global_load_dwordx2 v[4:5], v54, s[6:7]
	s_waitcnt vmcnt(2)
	v_readfirstlane_b32 s12, v0
	v_readfirstlane_b32 s13, v1
	s_add_u32 s14, s12, 1
	s_addc_u32 s15, s13, 0
	s_add_u32 s4, s14, s8
	s_addc_u32 s5, s15, s9
	s_cmp_eq_u64 s[4:5], 0
	s_cselect_b32 s5, s15, s5
	s_cselect_b32 s4, s14, s4
	s_and_b64 s[8:9], s[4:5], s[12:13]
	s_mul_i32 s9, s9, 24
	s_mul_hi_u32 s12, s8, 24
	s_mul_i32 s8, s8, 24
	s_add_i32 s9, s12, s9
	v_mov_b32_e32 v1, s9
	s_waitcnt vmcnt(0)
	v_add_co_u32_e32 v0, vcc, s8, v4
	v_addc_co_u32_e32 v1, vcc, v5, v1, vcc
	v_mov_b32_e32 v6, s4
	global_store_dwordx2 v[0:1], v[8:9], off
	v_mov_b32_e32 v7, s5
	s_waitcnt vmcnt(0)
	global_atomic_cmpswap_x2 v[6:7], v54, v[6:9], s[6:7] offset:24 glc
	s_waitcnt vmcnt(0)
	v_cmp_ne_u64_e32 vcc, v[6:7], v[8:9]
	s_and_b64 exec, exec, vcc
	s_cbranch_execz .LBB3_145
; %bb.143:                              ;   in Loop: Header=BB3_3 Depth=1
	s_mov_b64 s[8:9], 0
.LBB3_144:                              ;   Parent Loop BB3_3 Depth=1
                                        ; =>  This Inner Loop Header: Depth=2
	s_sleep 1
	global_store_dwordx2 v[0:1], v[6:7], off
	v_mov_b32_e32 v4, s4
	v_mov_b32_e32 v5, s5
	s_waitcnt vmcnt(0)
	global_atomic_cmpswap_x2 v[4:5], v54, v[4:7], s[6:7] offset:24 glc
	s_waitcnt vmcnt(0)
	v_cmp_eq_u64_e32 vcc, v[4:5], v[6:7]
	v_mov_b32_e32 v7, v5
	s_or_b64 s[8:9], vcc, s[8:9]
	v_mov_b32_e32 v6, v4
	s_andn2_b64 exec, exec, s[8:9]
	s_cbranch_execnz .LBB3_144
.LBB3_145:                              ;   in Loop: Header=BB3_3 Depth=1
	s_or_b64 exec, exec, s[10:11]
.LBB3_146:                              ;   in Loop: Header=BB3_3 Depth=1
	v_readfirstlane_b32 s4, v47
	s_waitcnt vmcnt(0)
	v_mov_b32_e32 v0, 0
	v_mov_b32_e32 v1, 0
	v_cmp_eq_u32_e64 s[4:5], s4, v47
	s_and_saveexec_b64 s[8:9], s[4:5]
	s_cbranch_execz .LBB3_152
; %bb.147:                              ;   in Loop: Header=BB3_3 Depth=1
	global_load_dwordx2 v[6:7], v54, s[6:7] offset:24 glc
	s_waitcnt vmcnt(0)
	buffer_wbinvl1_vol
	global_load_dwordx2 v[0:1], v54, s[6:7] offset:40
	global_load_dwordx2 v[4:5], v54, s[6:7]
	s_waitcnt vmcnt(1)
	v_and_b32_e32 v0, v0, v6
	v_and_b32_e32 v1, v1, v7
	v_mul_lo_u32 v1, v1, 24
	v_mul_hi_u32 v8, v0, 24
	v_mul_lo_u32 v0, v0, 24
	v_add_u32_e32 v1, v8, v1
	s_waitcnt vmcnt(0)
	v_add_co_u32_e32 v0, vcc, v4, v0
	v_addc_co_u32_e32 v1, vcc, v5, v1, vcc
	global_load_dwordx2 v[4:5], v[0:1], off glc
	s_waitcnt vmcnt(0)
	global_atomic_cmpswap_x2 v[0:1], v54, v[4:7], s[6:7] offset:24 glc
	s_waitcnt vmcnt(0)
	buffer_wbinvl1_vol
	v_cmp_ne_u64_e32 vcc, v[0:1], v[6:7]
	s_and_saveexec_b64 s[10:11], vcc
	s_cbranch_execz .LBB3_151
; %bb.148:                              ;   in Loop: Header=BB3_3 Depth=1
	s_mov_b64 s[12:13], 0
.LBB3_149:                              ;   Parent Loop BB3_3 Depth=1
                                        ; =>  This Inner Loop Header: Depth=2
	s_sleep 1
	global_load_dwordx2 v[4:5], v54, s[6:7] offset:40
	global_load_dwordx2 v[8:9], v54, s[6:7]
	v_mov_b32_e32 v7, v1
	v_mov_b32_e32 v6, v0
	s_waitcnt vmcnt(1)
	v_and_b32_e32 v0, v4, v6
	s_waitcnt vmcnt(0)
	v_mad_u64_u32 v[0:1], s[14:15], v0, 24, v[8:9]
	v_and_b32_e32 v4, v5, v7
	v_mad_u64_u32 v[4:5], s[14:15], v4, 24, v[1:2]
	v_mov_b32_e32 v1, v4
	global_load_dwordx2 v[4:5], v[0:1], off glc
	s_waitcnt vmcnt(0)
	global_atomic_cmpswap_x2 v[0:1], v54, v[4:7], s[6:7] offset:24 glc
	s_waitcnt vmcnt(0)
	buffer_wbinvl1_vol
	v_cmp_eq_u64_e32 vcc, v[0:1], v[6:7]
	s_or_b64 s[12:13], vcc, s[12:13]
	s_andn2_b64 exec, exec, s[12:13]
	s_cbranch_execnz .LBB3_149
; %bb.150:                              ;   in Loop: Header=BB3_3 Depth=1
	s_or_b64 exec, exec, s[12:13]
.LBB3_151:                              ;   in Loop: Header=BB3_3 Depth=1
	s_or_b64 exec, exec, s[10:11]
.LBB3_152:                              ;   in Loop: Header=BB3_3 Depth=1
	s_or_b64 exec, exec, s[8:9]
	global_load_dwordx2 v[4:5], v54, s[6:7] offset:40
	global_load_dwordx4 v[6:9], v54, s[6:7]
	v_readfirstlane_b32 s9, v1
	v_readfirstlane_b32 s8, v0
	s_mov_b64 s[10:11], exec
	s_waitcnt vmcnt(1)
	v_readfirstlane_b32 s12, v4
	v_readfirstlane_b32 s13, v5
	s_and_b64 s[12:13], s[12:13], s[8:9]
	s_mul_i32 s14, s13, 24
	s_mul_hi_u32 s15, s12, 24
	s_mul_i32 s16, s12, 24
	s_add_i32 s14, s15, s14
	v_mov_b32_e32 v0, s14
	s_waitcnt vmcnt(0)
	v_add_co_u32_e32 v10, vcc, s16, v6
	v_addc_co_u32_e32 v11, vcc, v7, v0, vcc
	s_and_saveexec_b64 s[14:15], s[4:5]
	s_cbranch_execz .LBB3_154
; %bb.153:                              ;   in Loop: Header=BB3_3 Depth=1
	v_mov_b32_e32 v38, s11
	v_mov_b32_e32 v37, s10
	global_store_dwordx4 v[10:11], v[37:40], off offset:8
.LBB3_154:                              ;   in Loop: Header=BB3_3 Depth=1
	s_or_b64 exec, exec, s[14:15]
	s_lshl_b64 s[10:11], s[12:13], 12
	v_mov_b32_e32 v0, s11
	v_add_co_u32_e32 v8, vcc, s10, v8
	v_addc_co_u32_e32 v9, vcc, v9, v0, vcc
	v_and_or_b32 v2, v2, s48, 32
	v_mov_b32_e32 v4, v50
	v_mov_b32_e32 v5, v51
	v_readfirstlane_b32 s10, v8
	v_readfirstlane_b32 s11, v9
	s_mov_b32 s41, s40
	s_mov_b32 s42, s40
	;; [unrolled: 1-line block ×3, first 2 shown]
	s_nop 1
	global_store_dwordx4 v27, v[2:5], s[10:11]
	v_mov_b32_e32 v0, s40
	v_mov_b32_e32 v1, s41
	;; [unrolled: 1-line block ×4, first 2 shown]
	global_store_dwordx4 v27, v[0:3], s[10:11] offset:16
	global_store_dwordx4 v27, v[0:3], s[10:11] offset:32
	;; [unrolled: 1-line block ×3, first 2 shown]
	s_and_saveexec_b64 s[10:11], s[4:5]
	s_cbranch_execz .LBB3_162
; %bb.155:                              ;   in Loop: Header=BB3_3 Depth=1
	global_load_dwordx2 v[14:15], v54, s[6:7] offset:32 glc
	global_load_dwordx2 v[0:1], v54, s[6:7] offset:40
	v_mov_b32_e32 v12, s8
	v_mov_b32_e32 v13, s9
	s_waitcnt vmcnt(0)
	v_readfirstlane_b32 s12, v0
	v_readfirstlane_b32 s13, v1
	s_and_b64 s[12:13], s[12:13], s[8:9]
	s_mul_i32 s13, s13, 24
	s_mul_hi_u32 s14, s12, 24
	s_mul_i32 s12, s12, 24
	s_add_i32 s13, s14, s13
	v_mov_b32_e32 v0, s13
	v_add_co_u32_e32 v4, vcc, s12, v6
	v_addc_co_u32_e32 v5, vcc, v7, v0, vcc
	global_store_dwordx2 v[4:5], v[14:15], off
	s_waitcnt vmcnt(0)
	global_atomic_cmpswap_x2 v[2:3], v54, v[12:15], s[6:7] offset:32 glc
	s_waitcnt vmcnt(0)
	v_cmp_ne_u64_e32 vcc, v[2:3], v[14:15]
	s_and_saveexec_b64 s[12:13], vcc
	s_cbranch_execz .LBB3_158
; %bb.156:                              ;   in Loop: Header=BB3_3 Depth=1
	s_mov_b64 s[14:15], 0
.LBB3_157:                              ;   Parent Loop BB3_3 Depth=1
                                        ; =>  This Inner Loop Header: Depth=2
	s_sleep 1
	global_store_dwordx2 v[4:5], v[2:3], off
	v_mov_b32_e32 v0, s8
	v_mov_b32_e32 v1, s9
	s_waitcnt vmcnt(0)
	global_atomic_cmpswap_x2 v[0:1], v54, v[0:3], s[6:7] offset:32 glc
	s_waitcnt vmcnt(0)
	v_cmp_eq_u64_e32 vcc, v[0:1], v[2:3]
	v_mov_b32_e32 v3, v1
	s_or_b64 s[14:15], vcc, s[14:15]
	v_mov_b32_e32 v2, v0
	s_andn2_b64 exec, exec, s[14:15]
	s_cbranch_execnz .LBB3_157
.LBB3_158:                              ;   in Loop: Header=BB3_3 Depth=1
	s_or_b64 exec, exec, s[12:13]
	global_load_dwordx2 v[0:1], v54, s[6:7] offset:16
	s_mov_b64 s[14:15], exec
	v_mbcnt_lo_u32_b32 v2, s14, 0
	v_mbcnt_hi_u32_b32 v2, s15, v2
	v_cmp_eq_u32_e32 vcc, 0, v2
	s_and_saveexec_b64 s[12:13], vcc
	s_cbranch_execz .LBB3_160
; %bb.159:                              ;   in Loop: Header=BB3_3 Depth=1
	s_bcnt1_i32_b64 s14, s[14:15]
	v_mov_b32_e32 v53, s14
	s_waitcnt vmcnt(0)
	global_atomic_add_x2 v[0:1], v[53:54], off offset:8
.LBB3_160:                              ;   in Loop: Header=BB3_3 Depth=1
	s_or_b64 exec, exec, s[12:13]
	s_waitcnt vmcnt(0)
	global_load_dwordx2 v[2:3], v[0:1], off offset:16
	s_waitcnt vmcnt(0)
	v_cmp_eq_u64_e32 vcc, 0, v[2:3]
	s_cbranch_vccnz .LBB3_162
; %bb.161:                              ;   in Loop: Header=BB3_3 Depth=1
	global_load_dword v53, v[0:1], off offset:24
	s_waitcnt vmcnt(0)
	v_readfirstlane_b32 s12, v53
	s_and_b32 m0, s12, 0xffffff
	global_store_dwordx2 v[2:3], v[53:54], off
	s_sendmsg sendmsg(MSG_INTERRUPT)
.LBB3_162:                              ;   in Loop: Header=BB3_3 Depth=1
	s_or_b64 exec, exec, s[10:11]
	v_add_co_u32_e32 v0, vcc, v8, v27
	v_addc_co_u32_e32 v1, vcc, 0, v9, vcc
	s_branch .LBB3_166
.LBB3_163:                              ;   in Loop: Header=BB3_166 Depth=2
	s_or_b64 exec, exec, s[10:11]
	v_readfirstlane_b32 s10, v2
	s_cmp_eq_u32 s10, 0
	s_cbranch_scc1 .LBB3_165
; %bb.164:                              ;   in Loop: Header=BB3_166 Depth=2
	s_sleep 1
	s_cbranch_execnz .LBB3_166
	s_branch .LBB3_168
.LBB3_165:                              ;   in Loop: Header=BB3_3 Depth=1
	s_branch .LBB3_168
.LBB3_166:                              ;   Parent Loop BB3_3 Depth=1
                                        ; =>  This Inner Loop Header: Depth=2
	v_mov_b32_e32 v2, 1
	s_and_saveexec_b64 s[10:11], s[4:5]
	s_cbranch_execz .LBB3_163
; %bb.167:                              ;   in Loop: Header=BB3_166 Depth=2
	global_load_dword v2, v[10:11], off offset:20 glc
	s_waitcnt vmcnt(0)
	buffer_wbinvl1_vol
	v_and_b32_e32 v2, 1, v2
	s_branch .LBB3_163
.LBB3_168:                              ;   in Loop: Header=BB3_3 Depth=1
	global_load_dwordx2 v[0:1], v[0:1], off
	s_and_saveexec_b64 s[10:11], s[4:5]
	s_cbranch_execz .LBB3_172
; %bb.169:                              ;   in Loop: Header=BB3_3 Depth=1
	global_load_dwordx2 v[2:3], v54, s[6:7] offset:40
	global_load_dwordx2 v[10:11], v54, s[6:7] offset:24 glc
	global_load_dwordx2 v[4:5], v54, s[6:7]
	s_waitcnt vmcnt(2)
	v_readfirstlane_b32 s12, v2
	v_readfirstlane_b32 s13, v3
	s_add_u32 s14, s12, 1
	s_addc_u32 s15, s13, 0
	s_add_u32 s4, s14, s8
	s_addc_u32 s5, s15, s9
	s_cmp_eq_u64 s[4:5], 0
	s_cselect_b32 s5, s15, s5
	s_cselect_b32 s4, s14, s4
	s_and_b64 s[8:9], s[4:5], s[12:13]
	s_mul_i32 s9, s9, 24
	s_mul_hi_u32 s12, s8, 24
	s_mul_i32 s8, s8, 24
	s_add_i32 s9, s12, s9
	v_mov_b32_e32 v2, s9
	s_waitcnt vmcnt(0)
	v_add_co_u32_e32 v6, vcc, s8, v4
	v_addc_co_u32_e32 v7, vcc, v5, v2, vcc
	v_mov_b32_e32 v8, s4
	global_store_dwordx2 v[6:7], v[10:11], off
	v_mov_b32_e32 v9, s5
	s_waitcnt vmcnt(0)
	global_atomic_cmpswap_x2 v[4:5], v54, v[8:11], s[6:7] offset:24 glc
	s_waitcnt vmcnt(0)
	v_cmp_ne_u64_e32 vcc, v[4:5], v[10:11]
	s_and_b64 exec, exec, vcc
	s_cbranch_execz .LBB3_172
; %bb.170:                              ;   in Loop: Header=BB3_3 Depth=1
	s_mov_b64 s[8:9], 0
.LBB3_171:                              ;   Parent Loop BB3_3 Depth=1
                                        ; =>  This Inner Loop Header: Depth=2
	s_sleep 1
	global_store_dwordx2 v[6:7], v[4:5], off
	v_mov_b32_e32 v2, s4
	v_mov_b32_e32 v3, s5
	s_waitcnt vmcnt(0)
	global_atomic_cmpswap_x2 v[2:3], v54, v[2:5], s[6:7] offset:24 glc
	s_waitcnt vmcnt(0)
	v_cmp_eq_u64_e32 vcc, v[2:3], v[4:5]
	v_mov_b32_e32 v5, v3
	s_or_b64 s[8:9], vcc, s[8:9]
	v_mov_b32_e32 v4, v2
	s_andn2_b64 exec, exec, s[8:9]
	s_cbranch_execnz .LBB3_171
.LBB3_172:                              ;   in Loop: Header=BB3_3 Depth=1
	s_or_b64 exec, exec, s[10:11]
	v_mul_lo_u32 v2, v25, v25
	v_mul_lo_u32 v3, v26, v26
	s_getpc_b64 s[24:25]
	s_add_u32 s24, s24, __ockl_printf_append_args@rel32@lo+4
	s_addc_u32 s25, s25, __ockl_printf_append_args@rel32@hi+12
	s_mov_b64 s[8:9], s[26:27]
	v_sub_u32_e32 v4, v2, v3
	v_cvt_f32_u32_e32 v5, v4
	v_sub_u32_e32 v6, 0, v4
	v_add_u32_e32 v2, v3, v2
	v_rcp_iflag_f32_e32 v5, v5
	v_mul_f32_e32 v5, 0x4f7ffffe, v5
	v_cvt_u32_f32_e32 v5, v5
	v_mul_lo_u32 v6, v6, v5
	v_mul_hi_u32 v6, v5, v6
	v_add_u32_e32 v3, v5, v6
	v_mul_hi_u32 v3, v2, v3
	v_mul_lo_u32 v5, v3, v4
	v_add_u32_e32 v6, 1, v3
	v_sub_u32_e32 v2, v2, v5
	v_cmp_ge_u32_e32 vcc, v2, v4
	v_sub_u32_e32 v5, v2, v4
	v_cndmask_b32_e32 v3, v3, v6, vcc
	v_cndmask_b32_e32 v2, v2, v5, vcc
	v_add_u32_e32 v5, 1, v3
	v_cmp_ge_u32_e32 vcc, v2, v4
	v_cndmask_b32_e32 v2, v3, v5, vcc
	v_cvt_f32_u32_e32 v2, v2
	v_mov_b32_e32 v3, v54
	v_mov_b32_e32 v4, v54
	v_cvt_f64_f32_e32 v[16:17], v2
	v_mov_b32_e32 v2, v50
	s_swappc_b64 s[30:31], s[24:25]
	s_mov_b64 s[8:9], s[26:27]
	v_mov_b32_e32 v2, v16
	v_mov_b32_e32 v3, v17
	;; [unrolled: 1-line block ×3, first 2 shown]
	s_swappc_b64 s[30:31], s[24:25]
	s_mov_b64 s[8:9], s[26:27]
	v_mov_b32_e32 v2, v16
	v_mov_b32_e32 v3, v17
	;; [unrolled: 1-line block ×3, first 2 shown]
	s_swappc_b64 s[30:31], s[24:25]
                                        ; implicit-def: $vgpr25
.LBB3_173:                              ;   in Loop: Header=BB3_3 Depth=1
	s_andn2_saveexec_b64 s[6:7], s[22:23]
	s_cbranch_execz .LBB3_196
; %bb.174:                              ;   in Loop: Header=BB3_3 Depth=1
	flat_load_dword v27, v[44:45]
	s_load_dwordx2 s[8:9], s[26:27], 0x50
	v_readfirstlane_b32 s4, v47
	v_mov_b32_e32 v4, 0
	v_mov_b32_e32 v5, 0
	v_cmp_eq_u32_e64 s[4:5], s4, v47
	s_and_saveexec_b64 s[10:11], s[4:5]
	s_cbranch_execz .LBB3_180
; %bb.175:                              ;   in Loop: Header=BB3_3 Depth=1
	s_waitcnt lgkmcnt(0)
	global_load_dwordx2 v[2:3], v54, s[8:9] offset:24 glc
	s_waitcnt vmcnt(0)
	buffer_wbinvl1_vol
	global_load_dwordx2 v[0:1], v54, s[8:9] offset:40
	global_load_dwordx2 v[4:5], v54, s[8:9]
	s_waitcnt vmcnt(1)
	v_and_b32_e32 v0, v0, v2
	v_and_b32_e32 v1, v1, v3
	v_mul_lo_u32 v1, v1, 24
	v_mul_hi_u32 v6, v0, 24
	v_mul_lo_u32 v0, v0, 24
	v_add_u32_e32 v1, v6, v1
	s_waitcnt vmcnt(0)
	v_add_co_u32_e32 v0, vcc, v4, v0
	v_addc_co_u32_e32 v1, vcc, v5, v1, vcc
	global_load_dwordx2 v[0:1], v[0:1], off glc
	s_waitcnt vmcnt(0)
	global_atomic_cmpswap_x2 v[4:5], v54, v[0:3], s[8:9] offset:24 glc
	s_waitcnt vmcnt(0)
	buffer_wbinvl1_vol
	v_cmp_ne_u64_e32 vcc, v[4:5], v[2:3]
	s_and_saveexec_b64 s[12:13], vcc
	s_cbranch_execz .LBB3_179
; %bb.176:                              ;   in Loop: Header=BB3_3 Depth=1
	s_mov_b64 s[14:15], 0
.LBB3_177:                              ;   Parent Loop BB3_3 Depth=1
                                        ; =>  This Inner Loop Header: Depth=2
	s_sleep 1
	global_load_dwordx2 v[0:1], v54, s[8:9] offset:40
	global_load_dwordx2 v[6:7], v54, s[8:9]
	v_mov_b32_e32 v2, v4
	v_mov_b32_e32 v3, v5
	s_waitcnt vmcnt(1)
	v_and_b32_e32 v0, v0, v2
	s_waitcnt vmcnt(0)
	v_mad_u64_u32 v[4:5], s[16:17], v0, 24, v[6:7]
	v_and_b32_e32 v1, v1, v3
	v_mov_b32_e32 v0, v5
	v_mad_u64_u32 v[0:1], s[16:17], v1, 24, v[0:1]
	v_mov_b32_e32 v5, v0
	global_load_dwordx2 v[0:1], v[4:5], off glc
	s_waitcnt vmcnt(0)
	global_atomic_cmpswap_x2 v[4:5], v54, v[0:3], s[8:9] offset:24 glc
	s_waitcnt vmcnt(0)
	buffer_wbinvl1_vol
	v_cmp_eq_u64_e32 vcc, v[4:5], v[2:3]
	s_or_b64 s[14:15], vcc, s[14:15]
	s_andn2_b64 exec, exec, s[14:15]
	s_cbranch_execnz .LBB3_177
; %bb.178:                              ;   in Loop: Header=BB3_3 Depth=1
	s_or_b64 exec, exec, s[14:15]
.LBB3_179:                              ;   in Loop: Header=BB3_3 Depth=1
	s_or_b64 exec, exec, s[12:13]
.LBB3_180:                              ;   in Loop: Header=BB3_3 Depth=1
	s_or_b64 exec, exec, s[10:11]
	s_waitcnt lgkmcnt(0)
	global_load_dwordx2 v[6:7], v54, s[8:9] offset:40
	global_load_dwordx4 v[0:3], v54, s[8:9]
	v_readfirstlane_b32 s11, v5
	v_readfirstlane_b32 s10, v4
	s_mov_b64 s[12:13], exec
	s_waitcnt vmcnt(0)
	v_readfirstlane_b32 s14, v6
	v_readfirstlane_b32 s15, v7
	s_and_b64 s[14:15], s[14:15], s[10:11]
	s_mul_i32 s16, s15, 24
	s_mul_hi_u32 s17, s14, 24
	s_mul_i32 s22, s14, 24
	s_add_i32 s16, s17, s16
	v_mov_b32_e32 v5, s16
	v_add_co_u32_e32 v4, vcc, s22, v0
	v_addc_co_u32_e32 v5, vcc, v1, v5, vcc
	s_and_saveexec_b64 s[16:17], s[4:5]
	s_cbranch_execz .LBB3_182
; %bb.181:                              ;   in Loop: Header=BB3_3 Depth=1
	v_mov_b32_e32 v38, s13
	v_mov_b32_e32 v37, s12
	global_store_dwordx4 v[4:5], v[37:40], off offset:8
.LBB3_182:                              ;   in Loop: Header=BB3_3 Depth=1
	s_or_b64 exec, exec, s[16:17]
	s_lshl_b64 s[12:13], s[14:15], 12
	v_mov_b32_e32 v6, s13
	v_add_co_u32_e32 v8, vcc, s12, v2
	v_addc_co_u32_e32 v9, vcc, v3, v6, vcc
	s_mov_b32 s41, s40
	s_mov_b32 s42, s40
	;; [unrolled: 1-line block ×3, first 2 shown]
	v_mov_b32_e32 v10, s40
	v_lshlrev_b32_e32 v26, 6, v47
	v_mov_b32_e32 v53, v54
	v_mov_b32_e32 v55, v54
	v_readfirstlane_b32 s12, v8
	v_readfirstlane_b32 s13, v9
	v_mov_b32_e32 v11, s41
	v_mov_b32_e32 v12, s42
	;; [unrolled: 1-line block ×3, first 2 shown]
	s_nop 1
	global_store_dwordx4 v26, v[52:55], s[12:13]
	global_store_dwordx4 v26, v[10:13], s[12:13] offset:16
	global_store_dwordx4 v26, v[10:13], s[12:13] offset:32
	;; [unrolled: 1-line block ×3, first 2 shown]
	s_and_saveexec_b64 s[12:13], s[4:5]
	s_cbranch_execz .LBB3_190
; %bb.183:                              ;   in Loop: Header=BB3_3 Depth=1
	global_load_dwordx2 v[12:13], v54, s[8:9] offset:32 glc
	global_load_dwordx2 v[2:3], v54, s[8:9] offset:40
	v_mov_b32_e32 v10, s10
	v_mov_b32_e32 v11, s11
	s_waitcnt vmcnt(0)
	v_and_b32_e32 v2, s10, v2
	v_and_b32_e32 v3, s11, v3
	v_mul_lo_u32 v3, v3, 24
	v_mul_hi_u32 v6, v2, 24
	v_mul_lo_u32 v2, v2, 24
	v_add_u32_e32 v3, v6, v3
	v_add_co_u32_e32 v6, vcc, v0, v2
	v_addc_co_u32_e32 v7, vcc, v1, v3, vcc
	global_store_dwordx2 v[6:7], v[12:13], off
	s_waitcnt vmcnt(0)
	global_atomic_cmpswap_x2 v[2:3], v54, v[10:13], s[8:9] offset:32 glc
	s_waitcnt vmcnt(0)
	v_cmp_ne_u64_e32 vcc, v[2:3], v[12:13]
	s_and_saveexec_b64 s[14:15], vcc
	s_cbranch_execz .LBB3_186
; %bb.184:                              ;   in Loop: Header=BB3_3 Depth=1
	s_mov_b64 s[16:17], 0
.LBB3_185:                              ;   Parent Loop BB3_3 Depth=1
                                        ; =>  This Inner Loop Header: Depth=2
	s_sleep 1
	global_store_dwordx2 v[6:7], v[2:3], off
	v_mov_b32_e32 v0, s10
	v_mov_b32_e32 v1, s11
	s_waitcnt vmcnt(0)
	global_atomic_cmpswap_x2 v[0:1], v54, v[0:3], s[8:9] offset:32 glc
	s_waitcnt vmcnt(0)
	v_cmp_eq_u64_e32 vcc, v[0:1], v[2:3]
	v_mov_b32_e32 v3, v1
	s_or_b64 s[16:17], vcc, s[16:17]
	v_mov_b32_e32 v2, v0
	s_andn2_b64 exec, exec, s[16:17]
	s_cbranch_execnz .LBB3_185
.LBB3_186:                              ;   in Loop: Header=BB3_3 Depth=1
	s_or_b64 exec, exec, s[14:15]
	global_load_dwordx2 v[0:1], v54, s[8:9] offset:16
	s_mov_b64 s[16:17], exec
	v_mbcnt_lo_u32_b32 v2, s16, 0
	v_mbcnt_hi_u32_b32 v2, s17, v2
	v_cmp_eq_u32_e32 vcc, 0, v2
	s_and_saveexec_b64 s[14:15], vcc
	s_cbranch_execz .LBB3_188
; %bb.187:                              ;   in Loop: Header=BB3_3 Depth=1
	s_bcnt1_i32_b64 s16, s[16:17]
	v_mov_b32_e32 v53, s16
	s_waitcnt vmcnt(0)
	global_atomic_add_x2 v[0:1], v[53:54], off offset:8
.LBB3_188:                              ;   in Loop: Header=BB3_3 Depth=1
	s_or_b64 exec, exec, s[14:15]
	s_waitcnt vmcnt(0)
	global_load_dwordx2 v[2:3], v[0:1], off offset:16
	s_waitcnt vmcnt(0)
	v_cmp_eq_u64_e32 vcc, 0, v[2:3]
	s_cbranch_vccnz .LBB3_190
; %bb.189:                              ;   in Loop: Header=BB3_3 Depth=1
	global_load_dword v53, v[0:1], off offset:24
	s_waitcnt vmcnt(0)
	v_readfirstlane_b32 s14, v53
	s_and_b32 m0, s14, 0xffffff
	global_store_dwordx2 v[2:3], v[53:54], off
	s_sendmsg sendmsg(MSG_INTERRUPT)
.LBB3_190:                              ;   in Loop: Header=BB3_3 Depth=1
	s_or_b64 exec, exec, s[12:13]
	v_add_co_u32_e32 v0, vcc, v8, v26
	v_addc_co_u32_e32 v1, vcc, 0, v9, vcc
	s_branch .LBB3_194
.LBB3_191:                              ;   in Loop: Header=BB3_194 Depth=2
	s_or_b64 exec, exec, s[12:13]
	v_readfirstlane_b32 s12, v2
	s_cmp_eq_u32 s12, 0
	s_cbranch_scc1 .LBB3_193
; %bb.192:                              ;   in Loop: Header=BB3_194 Depth=2
	s_sleep 1
	s_cbranch_execnz .LBB3_194
	s_branch .LBB3_310
.LBB3_193:                              ;   in Loop: Header=BB3_3 Depth=1
	s_branch .LBB3_310
.LBB3_194:                              ;   Parent Loop BB3_3 Depth=1
                                        ; =>  This Inner Loop Header: Depth=2
	v_mov_b32_e32 v2, 1
	s_and_saveexec_b64 s[12:13], s[4:5]
	s_cbranch_execz .LBB3_191
; %bb.195:                              ;   in Loop: Header=BB3_194 Depth=2
	global_load_dword v2, v[4:5], off offset:20 glc
	s_waitcnt vmcnt(0)
	buffer_wbinvl1_vol
	v_and_b32_e32 v2, 1, v2
	s_branch .LBB3_191
.LBB3_196:                              ;   in Loop: Header=BB3_3 Depth=1
	s_or_b64 exec, exec, s[6:7]
                                        ; implicit-def: $vgpr25
.LBB3_197:                              ;   in Loop: Header=BB3_3 Depth=1
	s_andn2_saveexec_b64 s[6:7], s[20:21]
	s_cbranch_execz .LBB3_532
.LBB3_198:                              ;   in Loop: Header=BB3_3 Depth=1
	flat_load_dword v27, v[44:45]
	s_load_dwordx2 s[8:9], s[26:27], 0x50
	v_readfirstlane_b32 s4, v47
	v_mov_b32_e32 v4, 0
	v_mov_b32_e32 v5, 0
	v_cmp_eq_u32_e64 s[4:5], s4, v47
	s_and_saveexec_b64 s[10:11], s[4:5]
	s_cbranch_execz .LBB3_204
; %bb.199:                              ;   in Loop: Header=BB3_3 Depth=1
	s_waitcnt lgkmcnt(0)
	global_load_dwordx2 v[2:3], v54, s[8:9] offset:24 glc
	s_waitcnt vmcnt(0)
	buffer_wbinvl1_vol
	global_load_dwordx2 v[0:1], v54, s[8:9] offset:40
	global_load_dwordx2 v[4:5], v54, s[8:9]
	s_waitcnt vmcnt(1)
	v_and_b32_e32 v0, v0, v2
	v_and_b32_e32 v1, v1, v3
	v_mul_lo_u32 v1, v1, 24
	v_mul_hi_u32 v6, v0, 24
	v_mul_lo_u32 v0, v0, 24
	v_add_u32_e32 v1, v6, v1
	s_waitcnt vmcnt(0)
	v_add_co_u32_e32 v0, vcc, v4, v0
	v_addc_co_u32_e32 v1, vcc, v5, v1, vcc
	global_load_dwordx2 v[0:1], v[0:1], off glc
	s_waitcnt vmcnt(0)
	global_atomic_cmpswap_x2 v[4:5], v54, v[0:3], s[8:9] offset:24 glc
	s_waitcnt vmcnt(0)
	buffer_wbinvl1_vol
	v_cmp_ne_u64_e32 vcc, v[4:5], v[2:3]
	s_and_saveexec_b64 s[12:13], vcc
	s_cbranch_execz .LBB3_203
; %bb.200:                              ;   in Loop: Header=BB3_3 Depth=1
	s_mov_b64 s[14:15], 0
.LBB3_201:                              ;   Parent Loop BB3_3 Depth=1
                                        ; =>  This Inner Loop Header: Depth=2
	s_sleep 1
	global_load_dwordx2 v[0:1], v54, s[8:9] offset:40
	global_load_dwordx2 v[6:7], v54, s[8:9]
	v_mov_b32_e32 v2, v4
	v_mov_b32_e32 v3, v5
	s_waitcnt vmcnt(1)
	v_and_b32_e32 v0, v0, v2
	s_waitcnt vmcnt(0)
	v_mad_u64_u32 v[4:5], s[16:17], v0, 24, v[6:7]
	v_and_b32_e32 v1, v1, v3
	v_mov_b32_e32 v0, v5
	v_mad_u64_u32 v[0:1], s[16:17], v1, 24, v[0:1]
	v_mov_b32_e32 v5, v0
	global_load_dwordx2 v[0:1], v[4:5], off glc
	s_waitcnt vmcnt(0)
	global_atomic_cmpswap_x2 v[4:5], v54, v[0:3], s[8:9] offset:24 glc
	s_waitcnt vmcnt(0)
	buffer_wbinvl1_vol
	v_cmp_eq_u64_e32 vcc, v[4:5], v[2:3]
	s_or_b64 s[14:15], vcc, s[14:15]
	s_andn2_b64 exec, exec, s[14:15]
	s_cbranch_execnz .LBB3_201
; %bb.202:                              ;   in Loop: Header=BB3_3 Depth=1
	s_or_b64 exec, exec, s[14:15]
.LBB3_203:                              ;   in Loop: Header=BB3_3 Depth=1
	s_or_b64 exec, exec, s[12:13]
.LBB3_204:                              ;   in Loop: Header=BB3_3 Depth=1
	s_or_b64 exec, exec, s[10:11]
	s_waitcnt lgkmcnt(0)
	global_load_dwordx2 v[6:7], v54, s[8:9] offset:40
	global_load_dwordx4 v[0:3], v54, s[8:9]
	v_readfirstlane_b32 s11, v5
	v_readfirstlane_b32 s10, v4
	s_mov_b64 s[12:13], exec
	s_waitcnt vmcnt(0)
	v_readfirstlane_b32 s14, v6
	v_readfirstlane_b32 s15, v7
	s_and_b64 s[14:15], s[14:15], s[10:11]
	s_mul_i32 s16, s15, 24
	s_mul_hi_u32 s17, s14, 24
	s_mul_i32 s20, s14, 24
	s_add_i32 s16, s17, s16
	v_mov_b32_e32 v5, s16
	v_add_co_u32_e32 v4, vcc, s20, v0
	v_addc_co_u32_e32 v5, vcc, v1, v5, vcc
	s_and_saveexec_b64 s[16:17], s[4:5]
	s_cbranch_execz .LBB3_206
; %bb.205:                              ;   in Loop: Header=BB3_3 Depth=1
	v_mov_b32_e32 v38, s13
	v_mov_b32_e32 v37, s12
	global_store_dwordx4 v[4:5], v[37:40], off offset:8
.LBB3_206:                              ;   in Loop: Header=BB3_3 Depth=1
	s_or_b64 exec, exec, s[16:17]
	s_lshl_b64 s[12:13], s[14:15], 12
	v_mov_b32_e32 v6, s13
	v_add_co_u32_e32 v8, vcc, s12, v2
	v_addc_co_u32_e32 v9, vcc, v3, v6, vcc
	s_mov_b32 s41, s40
	s_mov_b32 s42, s40
	;; [unrolled: 1-line block ×3, first 2 shown]
	v_mov_b32_e32 v10, s40
	v_lshlrev_b32_e32 v26, 6, v47
	v_mov_b32_e32 v53, v54
	v_mov_b32_e32 v55, v54
	v_readfirstlane_b32 s12, v8
	v_readfirstlane_b32 s13, v9
	v_mov_b32_e32 v11, s41
	v_mov_b32_e32 v12, s42
	;; [unrolled: 1-line block ×3, first 2 shown]
	s_nop 1
	global_store_dwordx4 v26, v[52:55], s[12:13]
	global_store_dwordx4 v26, v[10:13], s[12:13] offset:16
	global_store_dwordx4 v26, v[10:13], s[12:13] offset:32
	;; [unrolled: 1-line block ×3, first 2 shown]
	s_and_saveexec_b64 s[12:13], s[4:5]
	s_cbranch_execz .LBB3_214
; %bb.207:                              ;   in Loop: Header=BB3_3 Depth=1
	global_load_dwordx2 v[12:13], v54, s[8:9] offset:32 glc
	global_load_dwordx2 v[2:3], v54, s[8:9] offset:40
	v_mov_b32_e32 v10, s10
	v_mov_b32_e32 v11, s11
	s_waitcnt vmcnt(0)
	v_and_b32_e32 v2, s10, v2
	v_and_b32_e32 v3, s11, v3
	v_mul_lo_u32 v3, v3, 24
	v_mul_hi_u32 v6, v2, 24
	v_mul_lo_u32 v2, v2, 24
	v_add_u32_e32 v3, v6, v3
	v_add_co_u32_e32 v6, vcc, v0, v2
	v_addc_co_u32_e32 v7, vcc, v1, v3, vcc
	global_store_dwordx2 v[6:7], v[12:13], off
	s_waitcnt vmcnt(0)
	global_atomic_cmpswap_x2 v[2:3], v54, v[10:13], s[8:9] offset:32 glc
	s_waitcnt vmcnt(0)
	v_cmp_ne_u64_e32 vcc, v[2:3], v[12:13]
	s_and_saveexec_b64 s[14:15], vcc
	s_cbranch_execz .LBB3_210
; %bb.208:                              ;   in Loop: Header=BB3_3 Depth=1
	s_mov_b64 s[16:17], 0
.LBB3_209:                              ;   Parent Loop BB3_3 Depth=1
                                        ; =>  This Inner Loop Header: Depth=2
	s_sleep 1
	global_store_dwordx2 v[6:7], v[2:3], off
	v_mov_b32_e32 v0, s10
	v_mov_b32_e32 v1, s11
	s_waitcnt vmcnt(0)
	global_atomic_cmpswap_x2 v[0:1], v54, v[0:3], s[8:9] offset:32 glc
	s_waitcnt vmcnt(0)
	v_cmp_eq_u64_e32 vcc, v[0:1], v[2:3]
	v_mov_b32_e32 v3, v1
	s_or_b64 s[16:17], vcc, s[16:17]
	v_mov_b32_e32 v2, v0
	s_andn2_b64 exec, exec, s[16:17]
	s_cbranch_execnz .LBB3_209
.LBB3_210:                              ;   in Loop: Header=BB3_3 Depth=1
	s_or_b64 exec, exec, s[14:15]
	global_load_dwordx2 v[0:1], v54, s[8:9] offset:16
	s_mov_b64 s[16:17], exec
	v_mbcnt_lo_u32_b32 v2, s16, 0
	v_mbcnt_hi_u32_b32 v2, s17, v2
	v_cmp_eq_u32_e32 vcc, 0, v2
	s_and_saveexec_b64 s[14:15], vcc
	s_cbranch_execz .LBB3_212
; %bb.211:                              ;   in Loop: Header=BB3_3 Depth=1
	s_bcnt1_i32_b64 s16, s[16:17]
	v_mov_b32_e32 v53, s16
	s_waitcnt vmcnt(0)
	global_atomic_add_x2 v[0:1], v[53:54], off offset:8
.LBB3_212:                              ;   in Loop: Header=BB3_3 Depth=1
	s_or_b64 exec, exec, s[14:15]
	s_waitcnt vmcnt(0)
	global_load_dwordx2 v[2:3], v[0:1], off offset:16
	s_waitcnt vmcnt(0)
	v_cmp_eq_u64_e32 vcc, 0, v[2:3]
	s_cbranch_vccnz .LBB3_214
; %bb.213:                              ;   in Loop: Header=BB3_3 Depth=1
	global_load_dword v53, v[0:1], off offset:24
	s_waitcnt vmcnt(0)
	v_readfirstlane_b32 s14, v53
	s_and_b32 m0, s14, 0xffffff
	global_store_dwordx2 v[2:3], v[53:54], off
	s_sendmsg sendmsg(MSG_INTERRUPT)
.LBB3_214:                              ;   in Loop: Header=BB3_3 Depth=1
	s_or_b64 exec, exec, s[12:13]
	v_add_co_u32_e32 v0, vcc, v8, v26
	v_addc_co_u32_e32 v1, vcc, 0, v9, vcc
	s_branch .LBB3_218
.LBB3_215:                              ;   in Loop: Header=BB3_218 Depth=2
	s_or_b64 exec, exec, s[12:13]
	v_readfirstlane_b32 s12, v2
	s_cmp_eq_u32 s12, 0
	s_cbranch_scc1 .LBB3_217
; %bb.216:                              ;   in Loop: Header=BB3_218 Depth=2
	s_sleep 1
	s_cbranch_execnz .LBB3_218
	s_branch .LBB3_220
.LBB3_217:                              ;   in Loop: Header=BB3_3 Depth=1
	s_branch .LBB3_220
.LBB3_218:                              ;   Parent Loop BB3_3 Depth=1
                                        ; =>  This Inner Loop Header: Depth=2
	v_mov_b32_e32 v2, 1
	s_and_saveexec_b64 s[12:13], s[4:5]
	s_cbranch_execz .LBB3_215
; %bb.219:                              ;   in Loop: Header=BB3_218 Depth=2
	global_load_dword v2, v[4:5], off offset:20 glc
	s_waitcnt vmcnt(0)
	buffer_wbinvl1_vol
	v_and_b32_e32 v2, 1, v2
	s_branch .LBB3_215
.LBB3_220:                              ;   in Loop: Header=BB3_3 Depth=1
	global_load_dwordx2 v[0:1], v[0:1], off
	s_and_saveexec_b64 s[12:13], s[4:5]
	s_cbranch_execz .LBB3_224
; %bb.221:                              ;   in Loop: Header=BB3_3 Depth=1
	global_load_dwordx2 v[2:3], v54, s[8:9] offset:40
	global_load_dwordx2 v[10:11], v54, s[8:9] offset:24 glc
	global_load_dwordx2 v[4:5], v54, s[8:9]
	s_waitcnt vmcnt(2)
	v_readfirstlane_b32 s14, v2
	v_readfirstlane_b32 s15, v3
	s_add_u32 s16, s14, 1
	s_addc_u32 s17, s15, 0
	s_add_u32 s4, s16, s10
	s_addc_u32 s5, s17, s11
	s_cmp_eq_u64 s[4:5], 0
	s_cselect_b32 s5, s17, s5
	s_cselect_b32 s4, s16, s4
	s_and_b64 s[10:11], s[4:5], s[14:15]
	s_mul_i32 s11, s11, 24
	s_mul_hi_u32 s14, s10, 24
	s_mul_i32 s10, s10, 24
	s_add_i32 s11, s14, s11
	v_mov_b32_e32 v2, s11
	s_waitcnt vmcnt(0)
	v_add_co_u32_e32 v6, vcc, s10, v4
	v_addc_co_u32_e32 v7, vcc, v5, v2, vcc
	v_mov_b32_e32 v8, s4
	global_store_dwordx2 v[6:7], v[10:11], off
	v_mov_b32_e32 v9, s5
	s_waitcnt vmcnt(0)
	global_atomic_cmpswap_x2 v[4:5], v54, v[8:11], s[8:9] offset:24 glc
	s_waitcnt vmcnt(0)
	v_cmp_ne_u64_e32 vcc, v[4:5], v[10:11]
	s_and_b64 exec, exec, vcc
	s_cbranch_execz .LBB3_224
; %bb.222:                              ;   in Loop: Header=BB3_3 Depth=1
	s_mov_b64 s[10:11], 0
.LBB3_223:                              ;   Parent Loop BB3_3 Depth=1
                                        ; =>  This Inner Loop Header: Depth=2
	s_sleep 1
	global_store_dwordx2 v[6:7], v[4:5], off
	v_mov_b32_e32 v2, s4
	v_mov_b32_e32 v3, s5
	s_waitcnt vmcnt(0)
	global_atomic_cmpswap_x2 v[2:3], v54, v[2:5], s[8:9] offset:24 glc
	s_waitcnt vmcnt(0)
	v_cmp_eq_u64_e32 vcc, v[2:3], v[4:5]
	v_mov_b32_e32 v5, v3
	s_or_b64 s[10:11], vcc, s[10:11]
	v_mov_b32_e32 v4, v2
	s_andn2_b64 exec, exec, s[10:11]
	s_cbranch_execnz .LBB3_223
.LBB3_224:                              ;   in Loop: Header=BB3_3 Depth=1
	s_or_b64 exec, exec, s[12:13]
	s_and_b64 vcc, exec, s[58:59]
	s_cbranch_vccz .LBB3_399
; %bb.225:                              ;   in Loop: Header=BB3_3 Depth=1
	s_waitcnt vmcnt(0)
	v_and_b32_e32 v28, 2, v0
	v_and_b32_e32 v2, -3, v0
	v_mov_b32_e32 v3, v1
	s_mov_b64 s[12:13], 44
	s_getpc_b64 s[10:11]
	s_add_u32 s10, s10, .str.3@rel32@lo+4
	s_addc_u32 s11, s11, .str.3@rel32@hi+12
	s_branch .LBB3_227
.LBB3_226:                              ;   in Loop: Header=BB3_227 Depth=2
	s_or_b64 exec, exec, s[20:21]
	s_sub_u32 s12, s12, s14
	s_subb_u32 s13, s13, s15
	s_add_u32 s10, s10, s14
	s_addc_u32 s11, s11, s15
	s_cmp_lg_u64 s[12:13], 0
	s_cbranch_scc0 .LBB3_309
.LBB3_227:                              ;   Parent Loop BB3_3 Depth=1
                                        ; =>  This Loop Header: Depth=2
                                        ;       Child Loop BB3_230 Depth 3
                                        ;       Child Loop BB3_238 Depth 3
	;; [unrolled: 1-line block ×11, first 2 shown]
	v_cmp_lt_u64_e64 s[4:5], s[12:13], 56
	v_cmp_gt_u64_e64 s[16:17], s[12:13], 7
	s_and_b64 s[4:5], s[4:5], exec
	s_cselect_b32 s15, s13, 0
	s_cselect_b32 s14, s12, 56
	s_add_u32 s4, s10, 8
	s_addc_u32 s5, s11, 0
	s_and_b64 vcc, exec, s[16:17]
	s_cbranch_vccnz .LBB3_231
; %bb.228:                              ;   in Loop: Header=BB3_227 Depth=2
	s_cmp_eq_u64 s[12:13], 0
	s_cbranch_scc1 .LBB3_232
; %bb.229:                              ;   in Loop: Header=BB3_227 Depth=2
	v_mov_b32_e32 v4, 0
	s_lshl_b64 s[4:5], s[14:15], 3
	s_mov_b64 s[16:17], 0
	v_mov_b32_e32 v5, 0
	s_mov_b64 s[20:21], s[10:11]
.LBB3_230:                              ;   Parent Loop BB3_3 Depth=1
                                        ;     Parent Loop BB3_227 Depth=2
                                        ; =>    This Inner Loop Header: Depth=3
	global_load_ubyte v6, v54, s[20:21]
	s_waitcnt vmcnt(0)
	v_and_b32_e32 v53, 0xffff, v6
	v_lshlrev_b64 v[6:7], s16, v[53:54]
	s_add_u32 s16, s16, 8
	s_addc_u32 s17, s17, 0
	s_add_u32 s20, s20, 1
	s_addc_u32 s21, s21, 0
	v_or_b32_e32 v4, v6, v4
	s_cmp_lg_u32 s4, s16
	v_or_b32_e32 v5, v7, v5
	s_cbranch_scc1 .LBB3_230
	s_branch .LBB3_233
.LBB3_231:                              ;   in Loop: Header=BB3_227 Depth=2
	s_mov_b32 s22, 0
	s_branch .LBB3_234
.LBB3_232:                              ;   in Loop: Header=BB3_227 Depth=2
	v_mov_b32_e32 v4, 0
	v_mov_b32_e32 v5, 0
.LBB3_233:                              ;   in Loop: Header=BB3_227 Depth=2
	s_mov_b64 s[4:5], s[10:11]
	s_mov_b32 s22, 0
	s_cbranch_execnz .LBB3_235
.LBB3_234:                              ;   in Loop: Header=BB3_227 Depth=2
	global_load_dwordx2 v[4:5], v54, s[10:11]
	s_add_i32 s22, s14, -8
.LBB3_235:                              ;   in Loop: Header=BB3_227 Depth=2
	s_add_u32 s16, s4, 8
	s_addc_u32 s17, s5, 0
	s_cmp_gt_u32 s22, 7
	s_cbranch_scc1 .LBB3_239
; %bb.236:                              ;   in Loop: Header=BB3_227 Depth=2
	s_cmp_eq_u32 s22, 0
	s_cbranch_scc1 .LBB3_240
; %bb.237:                              ;   in Loop: Header=BB3_227 Depth=2
	v_mov_b32_e32 v6, 0
	s_mov_b64 s[16:17], 0
	v_mov_b32_e32 v7, 0
	s_mov_b64 s[20:21], 0
.LBB3_238:                              ;   Parent Loop BB3_3 Depth=1
                                        ;     Parent Loop BB3_227 Depth=2
                                        ; =>    This Inner Loop Header: Depth=3
	s_add_u32 s24, s4, s20
	s_addc_u32 s25, s5, s21
	global_load_ubyte v8, v54, s[24:25]
	s_add_u32 s20, s20, 1
	s_addc_u32 s21, s21, 0
	s_waitcnt vmcnt(0)
	v_and_b32_e32 v53, 0xffff, v8
	v_lshlrev_b64 v[8:9], s16, v[53:54]
	s_add_u32 s16, s16, 8
	s_addc_u32 s17, s17, 0
	v_or_b32_e32 v6, v8, v6
	s_cmp_lg_u32 s22, s20
	v_or_b32_e32 v7, v9, v7
	s_cbranch_scc1 .LBB3_238
	s_branch .LBB3_241
.LBB3_239:                              ;   in Loop: Header=BB3_227 Depth=2
                                        ; implicit-def: $vgpr6_vgpr7
	s_mov_b32 s23, 0
	s_branch .LBB3_242
.LBB3_240:                              ;   in Loop: Header=BB3_227 Depth=2
	v_mov_b32_e32 v6, 0
	v_mov_b32_e32 v7, 0
.LBB3_241:                              ;   in Loop: Header=BB3_227 Depth=2
	s_mov_b64 s[16:17], s[4:5]
	s_mov_b32 s23, 0
	s_cbranch_execnz .LBB3_243
.LBB3_242:                              ;   in Loop: Header=BB3_227 Depth=2
	global_load_dwordx2 v[6:7], v54, s[4:5]
	s_add_i32 s23, s22, -8
.LBB3_243:                              ;   in Loop: Header=BB3_227 Depth=2
	s_add_u32 s4, s16, 8
	s_addc_u32 s5, s17, 0
	s_cmp_gt_u32 s23, 7
	s_cbranch_scc1 .LBB3_247
; %bb.244:                              ;   in Loop: Header=BB3_227 Depth=2
	s_cmp_eq_u32 s23, 0
	s_cbranch_scc1 .LBB3_248
; %bb.245:                              ;   in Loop: Header=BB3_227 Depth=2
	v_mov_b32_e32 v8, 0
	s_mov_b64 s[4:5], 0
	v_mov_b32_e32 v9, 0
	s_mov_b64 s[20:21], 0
.LBB3_246:                              ;   Parent Loop BB3_3 Depth=1
                                        ;     Parent Loop BB3_227 Depth=2
                                        ; =>    This Inner Loop Header: Depth=3
	s_add_u32 s24, s16, s20
	s_addc_u32 s25, s17, s21
	global_load_ubyte v10, v54, s[24:25]
	s_add_u32 s20, s20, 1
	s_addc_u32 s21, s21, 0
	s_waitcnt vmcnt(0)
	v_and_b32_e32 v53, 0xffff, v10
	v_lshlrev_b64 v[10:11], s4, v[53:54]
	s_add_u32 s4, s4, 8
	s_addc_u32 s5, s5, 0
	v_or_b32_e32 v8, v10, v8
	s_cmp_lg_u32 s23, s20
	v_or_b32_e32 v9, v11, v9
	s_cbranch_scc1 .LBB3_246
	s_branch .LBB3_249
.LBB3_247:                              ;   in Loop: Header=BB3_227 Depth=2
	s_mov_b32 s22, 0
	s_branch .LBB3_250
.LBB3_248:                              ;   in Loop: Header=BB3_227 Depth=2
	v_mov_b32_e32 v8, 0
	v_mov_b32_e32 v9, 0
.LBB3_249:                              ;   in Loop: Header=BB3_227 Depth=2
	s_mov_b64 s[4:5], s[16:17]
	s_mov_b32 s22, 0
	s_cbranch_execnz .LBB3_251
.LBB3_250:                              ;   in Loop: Header=BB3_227 Depth=2
	global_load_dwordx2 v[8:9], v54, s[16:17]
	s_add_i32 s22, s23, -8
.LBB3_251:                              ;   in Loop: Header=BB3_227 Depth=2
	s_add_u32 s16, s4, 8
	s_addc_u32 s17, s5, 0
	s_cmp_gt_u32 s22, 7
	s_cbranch_scc1 .LBB3_255
; %bb.252:                              ;   in Loop: Header=BB3_227 Depth=2
	s_cmp_eq_u32 s22, 0
	s_cbranch_scc1 .LBB3_256
; %bb.253:                              ;   in Loop: Header=BB3_227 Depth=2
	v_mov_b32_e32 v10, 0
	s_mov_b64 s[16:17], 0
	v_mov_b32_e32 v11, 0
	s_mov_b64 s[20:21], 0
.LBB3_254:                              ;   Parent Loop BB3_3 Depth=1
                                        ;     Parent Loop BB3_227 Depth=2
                                        ; =>    This Inner Loop Header: Depth=3
	s_add_u32 s24, s4, s20
	s_addc_u32 s25, s5, s21
	global_load_ubyte v12, v54, s[24:25]
	s_add_u32 s20, s20, 1
	s_addc_u32 s21, s21, 0
	s_waitcnt vmcnt(0)
	v_and_b32_e32 v53, 0xffff, v12
	v_lshlrev_b64 v[12:13], s16, v[53:54]
	s_add_u32 s16, s16, 8
	s_addc_u32 s17, s17, 0
	v_or_b32_e32 v10, v12, v10
	s_cmp_lg_u32 s22, s20
	v_or_b32_e32 v11, v13, v11
	s_cbranch_scc1 .LBB3_254
	s_branch .LBB3_257
.LBB3_255:                              ;   in Loop: Header=BB3_227 Depth=2
                                        ; implicit-def: $vgpr10_vgpr11
	s_mov_b32 s23, 0
	s_branch .LBB3_258
.LBB3_256:                              ;   in Loop: Header=BB3_227 Depth=2
	v_mov_b32_e32 v10, 0
	v_mov_b32_e32 v11, 0
.LBB3_257:                              ;   in Loop: Header=BB3_227 Depth=2
	s_mov_b64 s[16:17], s[4:5]
	s_mov_b32 s23, 0
	s_cbranch_execnz .LBB3_259
.LBB3_258:                              ;   in Loop: Header=BB3_227 Depth=2
	global_load_dwordx2 v[10:11], v54, s[4:5]
	s_add_i32 s23, s22, -8
.LBB3_259:                              ;   in Loop: Header=BB3_227 Depth=2
	s_add_u32 s4, s16, 8
	s_addc_u32 s5, s17, 0
	s_cmp_gt_u32 s23, 7
	s_cbranch_scc1 .LBB3_263
; %bb.260:                              ;   in Loop: Header=BB3_227 Depth=2
	s_cmp_eq_u32 s23, 0
	s_cbranch_scc1 .LBB3_264
; %bb.261:                              ;   in Loop: Header=BB3_227 Depth=2
	v_mov_b32_e32 v12, 0
	s_mov_b64 s[4:5], 0
	v_mov_b32_e32 v13, 0
	s_mov_b64 s[20:21], 0
.LBB3_262:                              ;   Parent Loop BB3_3 Depth=1
                                        ;     Parent Loop BB3_227 Depth=2
                                        ; =>    This Inner Loop Header: Depth=3
	s_add_u32 s24, s16, s20
	s_addc_u32 s25, s17, s21
	global_load_ubyte v14, v54, s[24:25]
	s_add_u32 s20, s20, 1
	s_addc_u32 s21, s21, 0
	s_waitcnt vmcnt(0)
	v_and_b32_e32 v53, 0xffff, v14
	v_lshlrev_b64 v[14:15], s4, v[53:54]
	s_add_u32 s4, s4, 8
	s_addc_u32 s5, s5, 0
	v_or_b32_e32 v12, v14, v12
	s_cmp_lg_u32 s23, s20
	v_or_b32_e32 v13, v15, v13
	s_cbranch_scc1 .LBB3_262
	s_branch .LBB3_265
.LBB3_263:                              ;   in Loop: Header=BB3_227 Depth=2
	s_mov_b32 s22, 0
	s_branch .LBB3_266
.LBB3_264:                              ;   in Loop: Header=BB3_227 Depth=2
	v_mov_b32_e32 v12, 0
	v_mov_b32_e32 v13, 0
.LBB3_265:                              ;   in Loop: Header=BB3_227 Depth=2
	s_mov_b64 s[4:5], s[16:17]
	s_mov_b32 s22, 0
	s_cbranch_execnz .LBB3_267
.LBB3_266:                              ;   in Loop: Header=BB3_227 Depth=2
	global_load_dwordx2 v[12:13], v54, s[16:17]
	s_add_i32 s22, s23, -8
.LBB3_267:                              ;   in Loop: Header=BB3_227 Depth=2
	s_add_u32 s16, s4, 8
	s_addc_u32 s17, s5, 0
	s_cmp_gt_u32 s22, 7
	s_cbranch_scc1 .LBB3_271
; %bb.268:                              ;   in Loop: Header=BB3_227 Depth=2
	s_cmp_eq_u32 s22, 0
	s_cbranch_scc1 .LBB3_272
; %bb.269:                              ;   in Loop: Header=BB3_227 Depth=2
	v_mov_b32_e32 v14, 0
	s_mov_b64 s[16:17], 0
	v_mov_b32_e32 v15, 0
	s_mov_b64 s[20:21], 0
.LBB3_270:                              ;   Parent Loop BB3_3 Depth=1
                                        ;     Parent Loop BB3_227 Depth=2
                                        ; =>    This Inner Loop Header: Depth=3
	s_add_u32 s24, s4, s20
	s_addc_u32 s25, s5, s21
	global_load_ubyte v16, v54, s[24:25]
	s_add_u32 s20, s20, 1
	s_addc_u32 s21, s21, 0
	s_waitcnt vmcnt(0)
	v_and_b32_e32 v53, 0xffff, v16
	v_lshlrev_b64 v[16:17], s16, v[53:54]
	s_add_u32 s16, s16, 8
	s_addc_u32 s17, s17, 0
	v_or_b32_e32 v14, v16, v14
	s_cmp_lg_u32 s22, s20
	v_or_b32_e32 v15, v17, v15
	s_cbranch_scc1 .LBB3_270
	s_branch .LBB3_273
.LBB3_271:                              ;   in Loop: Header=BB3_227 Depth=2
                                        ; implicit-def: $vgpr14_vgpr15
	s_mov_b32 s23, 0
	s_branch .LBB3_274
.LBB3_272:                              ;   in Loop: Header=BB3_227 Depth=2
	v_mov_b32_e32 v14, 0
	v_mov_b32_e32 v15, 0
.LBB3_273:                              ;   in Loop: Header=BB3_227 Depth=2
	s_mov_b64 s[16:17], s[4:5]
	s_mov_b32 s23, 0
	s_cbranch_execnz .LBB3_275
.LBB3_274:                              ;   in Loop: Header=BB3_227 Depth=2
	global_load_dwordx2 v[14:15], v54, s[4:5]
	s_add_i32 s23, s22, -8
.LBB3_275:                              ;   in Loop: Header=BB3_227 Depth=2
	s_cmp_gt_u32 s23, 7
	s_cbranch_scc1 .LBB3_279
; %bb.276:                              ;   in Loop: Header=BB3_227 Depth=2
	s_cmp_eq_u32 s23, 0
	s_cbranch_scc1 .LBB3_280
; %bb.277:                              ;   in Loop: Header=BB3_227 Depth=2
	v_mov_b32_e32 v16, 0
	s_mov_b64 s[4:5], 0
	v_mov_b32_e32 v17, 0
	s_mov_b64 s[20:21], s[16:17]
.LBB3_278:                              ;   Parent Loop BB3_3 Depth=1
                                        ;     Parent Loop BB3_227 Depth=2
                                        ; =>    This Inner Loop Header: Depth=3
	global_load_ubyte v18, v54, s[20:21]
	s_add_i32 s23, s23, -1
	s_waitcnt vmcnt(0)
	v_and_b32_e32 v53, 0xffff, v18
	v_lshlrev_b64 v[18:19], s4, v[53:54]
	s_add_u32 s4, s4, 8
	s_addc_u32 s5, s5, 0
	s_add_u32 s20, s20, 1
	s_addc_u32 s21, s21, 0
	v_or_b32_e32 v16, v18, v16
	s_cmp_lg_u32 s23, 0
	v_or_b32_e32 v17, v19, v17
	s_cbranch_scc1 .LBB3_278
	s_branch .LBB3_281
.LBB3_279:                              ;   in Loop: Header=BB3_227 Depth=2
	s_branch .LBB3_282
.LBB3_280:                              ;   in Loop: Header=BB3_227 Depth=2
	v_mov_b32_e32 v16, 0
	v_mov_b32_e32 v17, 0
.LBB3_281:                              ;   in Loop: Header=BB3_227 Depth=2
	s_cbranch_execnz .LBB3_283
.LBB3_282:                              ;   in Loop: Header=BB3_227 Depth=2
	global_load_dwordx2 v[16:17], v54, s[16:17]
.LBB3_283:                              ;   in Loop: Header=BB3_227 Depth=2
	v_readfirstlane_b32 s4, v47
	v_mov_b32_e32 v22, 0
	v_mov_b32_e32 v23, 0
	v_cmp_eq_u32_e64 s[4:5], s4, v47
	s_and_saveexec_b64 s[16:17], s[4:5]
	s_cbranch_execz .LBB3_289
; %bb.284:                              ;   in Loop: Header=BB3_227 Depth=2
	global_load_dwordx2 v[20:21], v54, s[8:9] offset:24 glc
	s_waitcnt vmcnt(0)
	buffer_wbinvl1_vol
	global_load_dwordx2 v[18:19], v54, s[8:9] offset:40
	global_load_dwordx2 v[22:23], v54, s[8:9]
	s_waitcnt vmcnt(1)
	v_and_b32_e32 v18, v18, v20
	v_and_b32_e32 v19, v19, v21
	v_mul_lo_u32 v19, v19, 24
	v_mul_hi_u32 v29, v18, 24
	v_mul_lo_u32 v18, v18, 24
	v_add_u32_e32 v19, v29, v19
	s_waitcnt vmcnt(0)
	v_add_co_u32_e32 v18, vcc, v22, v18
	v_addc_co_u32_e32 v19, vcc, v23, v19, vcc
	global_load_dwordx2 v[18:19], v[18:19], off glc
	s_waitcnt vmcnt(0)
	global_atomic_cmpswap_x2 v[22:23], v54, v[18:21], s[8:9] offset:24 glc
	s_waitcnt vmcnt(0)
	buffer_wbinvl1_vol
	v_cmp_ne_u64_e32 vcc, v[22:23], v[20:21]
	s_and_saveexec_b64 s[20:21], vcc
	s_cbranch_execz .LBB3_288
; %bb.285:                              ;   in Loop: Header=BB3_227 Depth=2
	s_mov_b64 s[22:23], 0
.LBB3_286:                              ;   Parent Loop BB3_3 Depth=1
                                        ;     Parent Loop BB3_227 Depth=2
                                        ; =>    This Inner Loop Header: Depth=3
	s_sleep 1
	global_load_dwordx2 v[18:19], v54, s[8:9] offset:40
	global_load_dwordx2 v[29:30], v54, s[8:9]
	v_mov_b32_e32 v20, v22
	v_mov_b32_e32 v21, v23
	s_waitcnt vmcnt(1)
	v_and_b32_e32 v18, v18, v20
	s_waitcnt vmcnt(0)
	v_mad_u64_u32 v[22:23], s[24:25], v18, 24, v[29:30]
	v_and_b32_e32 v19, v19, v21
	v_mov_b32_e32 v18, v23
	v_mad_u64_u32 v[18:19], s[24:25], v19, 24, v[18:19]
	v_mov_b32_e32 v23, v18
	global_load_dwordx2 v[18:19], v[22:23], off glc
	s_waitcnt vmcnt(0)
	global_atomic_cmpswap_x2 v[22:23], v54, v[18:21], s[8:9] offset:24 glc
	s_waitcnt vmcnt(0)
	buffer_wbinvl1_vol
	v_cmp_eq_u64_e32 vcc, v[22:23], v[20:21]
	s_or_b64 s[22:23], vcc, s[22:23]
	s_andn2_b64 exec, exec, s[22:23]
	s_cbranch_execnz .LBB3_286
; %bb.287:                              ;   in Loop: Header=BB3_227 Depth=2
	s_or_b64 exec, exec, s[22:23]
.LBB3_288:                              ;   in Loop: Header=BB3_227 Depth=2
	s_or_b64 exec, exec, s[20:21]
.LBB3_289:                              ;   in Loop: Header=BB3_227 Depth=2
	s_or_b64 exec, exec, s[16:17]
	global_load_dwordx2 v[29:30], v54, s[8:9] offset:40
	global_load_dwordx4 v[18:21], v54, s[8:9]
	v_readfirstlane_b32 s17, v23
	v_readfirstlane_b32 s16, v22
	s_mov_b64 s[20:21], exec
	s_waitcnt vmcnt(1)
	v_readfirstlane_b32 s22, v29
	v_readfirstlane_b32 s23, v30
	s_and_b64 s[22:23], s[22:23], s[16:17]
	s_mul_i32 s24, s23, 24
	s_mul_hi_u32 s25, s22, 24
	s_mul_i32 s41, s22, 24
	s_add_i32 s24, s25, s24
	v_mov_b32_e32 v23, s24
	s_waitcnt vmcnt(0)
	v_add_co_u32_e32 v22, vcc, s41, v18
	v_addc_co_u32_e32 v23, vcc, v19, v23, vcc
	s_and_saveexec_b64 s[24:25], s[4:5]
	s_cbranch_execz .LBB3_291
; %bb.290:                              ;   in Loop: Header=BB3_227 Depth=2
	v_mov_b32_e32 v38, s21
	v_mov_b32_e32 v37, s20
	global_store_dwordx4 v[22:23], v[37:40], off offset:8
.LBB3_291:                              ;   in Loop: Header=BB3_227 Depth=2
	s_or_b64 exec, exec, s[24:25]
	s_lshl_b64 s[20:21], s[22:23], 12
	v_mov_b32_e32 v29, s21
	v_add_co_u32_e32 v20, vcc, s20, v20
	v_addc_co_u32_e32 v21, vcc, v21, v29, vcc
	v_cmp_lt_u64_e64 vcc, s[12:13], 57
	s_lshl_b32 s20, s14, 2
	v_cndmask_b32_e32 v29, 0, v28, vcc
	s_add_i32 s20, s20, 28
	v_and_b32_e32 v2, 0xffffff1f, v2
	s_and_b32 s20, s20, 0x1e0
	v_or_b32_e32 v2, v2, v29
	v_or_b32_e32 v2, s20, v2
	v_readfirstlane_b32 s20, v20
	v_readfirstlane_b32 s21, v21
	s_nop 4
	global_store_dwordx4 v26, v[2:5], s[20:21]
	global_store_dwordx4 v26, v[6:9], s[20:21] offset:16
	global_store_dwordx4 v26, v[10:13], s[20:21] offset:32
	;; [unrolled: 1-line block ×3, first 2 shown]
	s_and_saveexec_b64 s[20:21], s[4:5]
	s_cbranch_execz .LBB3_299
; %bb.292:                              ;   in Loop: Header=BB3_227 Depth=2
	global_load_dwordx2 v[10:11], v54, s[8:9] offset:32 glc
	global_load_dwordx2 v[2:3], v54, s[8:9] offset:40
	v_mov_b32_e32 v8, s16
	v_mov_b32_e32 v9, s17
	s_waitcnt vmcnt(0)
	v_readfirstlane_b32 s22, v2
	v_readfirstlane_b32 s23, v3
	s_and_b64 s[22:23], s[22:23], s[16:17]
	s_mul_i32 s23, s23, 24
	s_mul_hi_u32 s24, s22, 24
	s_mul_i32 s22, s22, 24
	s_add_i32 s23, s24, s23
	v_mov_b32_e32 v2, s23
	v_add_co_u32_e32 v6, vcc, s22, v18
	v_addc_co_u32_e32 v7, vcc, v19, v2, vcc
	global_store_dwordx2 v[6:7], v[10:11], off
	s_waitcnt vmcnt(0)
	global_atomic_cmpswap_x2 v[4:5], v54, v[8:11], s[8:9] offset:32 glc
	s_waitcnt vmcnt(0)
	v_cmp_ne_u64_e32 vcc, v[4:5], v[10:11]
	s_and_saveexec_b64 s[22:23], vcc
	s_cbranch_execz .LBB3_295
; %bb.293:                              ;   in Loop: Header=BB3_227 Depth=2
	s_mov_b64 s[24:25], 0
.LBB3_294:                              ;   Parent Loop BB3_3 Depth=1
                                        ;     Parent Loop BB3_227 Depth=2
                                        ; =>    This Inner Loop Header: Depth=3
	s_sleep 1
	global_store_dwordx2 v[6:7], v[4:5], off
	v_mov_b32_e32 v2, s16
	v_mov_b32_e32 v3, s17
	s_waitcnt vmcnt(0)
	global_atomic_cmpswap_x2 v[2:3], v54, v[2:5], s[8:9] offset:32 glc
	s_waitcnt vmcnt(0)
	v_cmp_eq_u64_e32 vcc, v[2:3], v[4:5]
	v_mov_b32_e32 v5, v3
	s_or_b64 s[24:25], vcc, s[24:25]
	v_mov_b32_e32 v4, v2
	s_andn2_b64 exec, exec, s[24:25]
	s_cbranch_execnz .LBB3_294
.LBB3_295:                              ;   in Loop: Header=BB3_227 Depth=2
	s_or_b64 exec, exec, s[22:23]
	global_load_dwordx2 v[2:3], v54, s[8:9] offset:16
	s_mov_b64 s[24:25], exec
	v_mbcnt_lo_u32_b32 v4, s24, 0
	v_mbcnt_hi_u32_b32 v4, s25, v4
	v_cmp_eq_u32_e32 vcc, 0, v4
	s_and_saveexec_b64 s[22:23], vcc
	s_cbranch_execz .LBB3_297
; %bb.296:                              ;   in Loop: Header=BB3_227 Depth=2
	s_bcnt1_i32_b64 s24, s[24:25]
	v_mov_b32_e32 v53, s24
	s_waitcnt vmcnt(0)
	global_atomic_add_x2 v[2:3], v[53:54], off offset:8
.LBB3_297:                              ;   in Loop: Header=BB3_227 Depth=2
	s_or_b64 exec, exec, s[22:23]
	s_waitcnt vmcnt(0)
	global_load_dwordx2 v[4:5], v[2:3], off offset:16
	s_waitcnt vmcnt(0)
	v_cmp_eq_u64_e32 vcc, 0, v[4:5]
	s_cbranch_vccnz .LBB3_299
; %bb.298:                              ;   in Loop: Header=BB3_227 Depth=2
	global_load_dword v53, v[2:3], off offset:24
	s_waitcnt vmcnt(0)
	v_readfirstlane_b32 s22, v53
	s_and_b32 m0, s22, 0xffffff
	global_store_dwordx2 v[4:5], v[53:54], off
	s_sendmsg sendmsg(MSG_INTERRUPT)
.LBB3_299:                              ;   in Loop: Header=BB3_227 Depth=2
	s_or_b64 exec, exec, s[20:21]
	v_add_co_u32_e32 v2, vcc, v20, v26
	v_addc_co_u32_e32 v3, vcc, 0, v21, vcc
	s_branch .LBB3_303
.LBB3_300:                              ;   in Loop: Header=BB3_303 Depth=3
	s_or_b64 exec, exec, s[20:21]
	v_readfirstlane_b32 s20, v4
	s_cmp_eq_u32 s20, 0
	s_cbranch_scc1 .LBB3_302
; %bb.301:                              ;   in Loop: Header=BB3_303 Depth=3
	s_sleep 1
	s_cbranch_execnz .LBB3_303
	s_branch .LBB3_305
.LBB3_302:                              ;   in Loop: Header=BB3_227 Depth=2
	s_branch .LBB3_305
.LBB3_303:                              ;   Parent Loop BB3_3 Depth=1
                                        ;     Parent Loop BB3_227 Depth=2
                                        ; =>    This Inner Loop Header: Depth=3
	v_mov_b32_e32 v4, 1
	s_and_saveexec_b64 s[20:21], s[4:5]
	s_cbranch_execz .LBB3_300
; %bb.304:                              ;   in Loop: Header=BB3_303 Depth=3
	global_load_dword v4, v[22:23], off offset:20 glc
	s_waitcnt vmcnt(0)
	buffer_wbinvl1_vol
	v_and_b32_e32 v4, 1, v4
	s_branch .LBB3_300
.LBB3_305:                              ;   in Loop: Header=BB3_227 Depth=2
	global_load_dwordx2 v[2:3], v[2:3], off
	s_and_saveexec_b64 s[20:21], s[4:5]
	s_cbranch_execz .LBB3_226
; %bb.306:                              ;   in Loop: Header=BB3_227 Depth=2
	global_load_dwordx2 v[4:5], v54, s[8:9] offset:40
	global_load_dwordx2 v[12:13], v54, s[8:9] offset:24 glc
	global_load_dwordx2 v[6:7], v54, s[8:9]
	s_waitcnt vmcnt(2)
	v_readfirstlane_b32 s22, v4
	v_readfirstlane_b32 s23, v5
	s_add_u32 s24, s22, 1
	s_addc_u32 s25, s23, 0
	s_add_u32 s4, s24, s16
	s_addc_u32 s5, s25, s17
	s_cmp_eq_u64 s[4:5], 0
	s_cselect_b32 s5, s25, s5
	s_cselect_b32 s4, s24, s4
	s_and_b64 s[16:17], s[4:5], s[22:23]
	s_mul_i32 s17, s17, 24
	s_mul_hi_u32 s22, s16, 24
	s_mul_i32 s16, s16, 24
	s_add_i32 s17, s22, s17
	v_mov_b32_e32 v4, s17
	s_waitcnt vmcnt(0)
	v_add_co_u32_e32 v8, vcc, s16, v6
	v_addc_co_u32_e32 v9, vcc, v7, v4, vcc
	v_mov_b32_e32 v10, s4
	global_store_dwordx2 v[8:9], v[12:13], off
	v_mov_b32_e32 v11, s5
	s_waitcnt vmcnt(0)
	global_atomic_cmpswap_x2 v[6:7], v54, v[10:13], s[8:9] offset:24 glc
	s_waitcnt vmcnt(0)
	v_cmp_ne_u64_e32 vcc, v[6:7], v[12:13]
	s_and_b64 exec, exec, vcc
	s_cbranch_execz .LBB3_226
; %bb.307:                              ;   in Loop: Header=BB3_227 Depth=2
	s_mov_b64 s[16:17], 0
.LBB3_308:                              ;   Parent Loop BB3_3 Depth=1
                                        ;     Parent Loop BB3_227 Depth=2
                                        ; =>    This Inner Loop Header: Depth=3
	s_sleep 1
	global_store_dwordx2 v[8:9], v[6:7], off
	v_mov_b32_e32 v4, s4
	v_mov_b32_e32 v5, s5
	s_waitcnt vmcnt(0)
	global_atomic_cmpswap_x2 v[4:5], v54, v[4:7], s[8:9] offset:24 glc
	s_waitcnt vmcnt(0)
	v_cmp_eq_u64_e32 vcc, v[4:5], v[6:7]
	v_mov_b32_e32 v7, v5
	s_or_b64 s[16:17], vcc, s[16:17]
	v_mov_b32_e32 v6, v4
	s_andn2_b64 exec, exec, s[16:17]
	s_cbranch_execnz .LBB3_308
	s_branch .LBB3_226
.LBB3_309:                              ;   in Loop: Header=BB3_3 Depth=1
	s_branch .LBB3_427
.LBB3_310:                              ;   in Loop: Header=BB3_3 Depth=1
	global_load_dwordx2 v[0:1], v[0:1], off
	s_and_saveexec_b64 s[12:13], s[4:5]
	s_cbranch_execz .LBB3_314
; %bb.311:                              ;   in Loop: Header=BB3_3 Depth=1
	global_load_dwordx2 v[2:3], v54, s[8:9] offset:40
	global_load_dwordx2 v[10:11], v54, s[8:9] offset:24 glc
	global_load_dwordx2 v[4:5], v54, s[8:9]
	s_waitcnt vmcnt(2)
	v_readfirstlane_b32 s14, v2
	v_readfirstlane_b32 s15, v3
	s_add_u32 s16, s14, 1
	s_addc_u32 s17, s15, 0
	s_add_u32 s4, s16, s10
	s_addc_u32 s5, s17, s11
	s_cmp_eq_u64 s[4:5], 0
	s_cselect_b32 s5, s17, s5
	s_cselect_b32 s4, s16, s4
	s_and_b64 s[10:11], s[4:5], s[14:15]
	s_mul_i32 s11, s11, 24
	s_mul_hi_u32 s14, s10, 24
	s_mul_i32 s10, s10, 24
	s_add_i32 s11, s14, s11
	v_mov_b32_e32 v2, s11
	s_waitcnt vmcnt(0)
	v_add_co_u32_e32 v6, vcc, s10, v4
	v_addc_co_u32_e32 v7, vcc, v5, v2, vcc
	v_mov_b32_e32 v8, s4
	global_store_dwordx2 v[6:7], v[10:11], off
	v_mov_b32_e32 v9, s5
	s_waitcnt vmcnt(0)
	global_atomic_cmpswap_x2 v[4:5], v54, v[8:11], s[8:9] offset:24 glc
	s_waitcnt vmcnt(0)
	v_cmp_ne_u64_e32 vcc, v[4:5], v[10:11]
	s_and_b64 exec, exec, vcc
	s_cbranch_execz .LBB3_314
; %bb.312:                              ;   in Loop: Header=BB3_3 Depth=1
	s_mov_b64 s[10:11], 0
.LBB3_313:                              ;   Parent Loop BB3_3 Depth=1
                                        ; =>  This Inner Loop Header: Depth=2
	s_sleep 1
	global_store_dwordx2 v[6:7], v[4:5], off
	v_mov_b32_e32 v2, s4
	v_mov_b32_e32 v3, s5
	s_waitcnt vmcnt(0)
	global_atomic_cmpswap_x2 v[2:3], v54, v[2:5], s[8:9] offset:24 glc
	s_waitcnt vmcnt(0)
	v_cmp_eq_u64_e32 vcc, v[2:3], v[4:5]
	v_mov_b32_e32 v5, v3
	s_or_b64 s[10:11], vcc, s[10:11]
	v_mov_b32_e32 v4, v2
	s_andn2_b64 exec, exec, s[10:11]
	s_cbranch_execnz .LBB3_313
.LBB3_314:                              ;   in Loop: Header=BB3_3 Depth=1
	s_or_b64 exec, exec, s[12:13]
	s_and_b64 vcc, exec, s[56:57]
	s_cbranch_vccz .LBB3_649
; %bb.315:                              ;   in Loop: Header=BB3_3 Depth=1
	s_waitcnt vmcnt(0)
	v_and_b32_e32 v28, 2, v0
	v_and_b32_e32 v2, -3, v0
	v_mov_b32_e32 v3, v1
	s_mov_b64 s[12:13], 45
	s_getpc_b64 s[10:11]
	s_add_u32 s10, s10, .str.4@rel32@lo+4
	s_addc_u32 s11, s11, .str.4@rel32@hi+12
	s_branch .LBB3_317
.LBB3_316:                              ;   in Loop: Header=BB3_317 Depth=2
	s_or_b64 exec, exec, s[22:23]
	s_sub_u32 s12, s12, s14
	s_subb_u32 s13, s13, s15
	s_add_u32 s10, s10, s14
	s_addc_u32 s11, s11, s15
	s_cmp_lg_u64 s[12:13], 0
	s_cbranch_scc0 .LBB3_647
.LBB3_317:                              ;   Parent Loop BB3_3 Depth=1
                                        ; =>  This Loop Header: Depth=2
                                        ;       Child Loop BB3_320 Depth 3
                                        ;       Child Loop BB3_328 Depth 3
	;; [unrolled: 1-line block ×11, first 2 shown]
	v_cmp_lt_u64_e64 s[4:5], s[12:13], 56
	v_cmp_gt_u64_e64 s[16:17], s[12:13], 7
	s_and_b64 s[4:5], s[4:5], exec
	s_cselect_b32 s15, s13, 0
	s_cselect_b32 s14, s12, 56
	s_add_u32 s4, s10, 8
	s_addc_u32 s5, s11, 0
	s_and_b64 vcc, exec, s[16:17]
	s_cbranch_vccnz .LBB3_321
; %bb.318:                              ;   in Loop: Header=BB3_317 Depth=2
	s_cmp_eq_u64 s[12:13], 0
	s_cbranch_scc1 .LBB3_322
; %bb.319:                              ;   in Loop: Header=BB3_317 Depth=2
	v_mov_b32_e32 v4, 0
	s_lshl_b64 s[4:5], s[14:15], 3
	s_mov_b64 s[16:17], 0
	v_mov_b32_e32 v5, 0
	s_mov_b64 s[22:23], s[10:11]
.LBB3_320:                              ;   Parent Loop BB3_3 Depth=1
                                        ;     Parent Loop BB3_317 Depth=2
                                        ; =>    This Inner Loop Header: Depth=3
	global_load_ubyte v6, v54, s[22:23]
	s_waitcnt vmcnt(0)
	v_and_b32_e32 v53, 0xffff, v6
	v_lshlrev_b64 v[6:7], s16, v[53:54]
	s_add_u32 s16, s16, 8
	s_addc_u32 s17, s17, 0
	s_add_u32 s22, s22, 1
	s_addc_u32 s23, s23, 0
	v_or_b32_e32 v4, v6, v4
	s_cmp_lg_u32 s4, s16
	v_or_b32_e32 v5, v7, v5
	s_cbranch_scc1 .LBB3_320
	s_branch .LBB3_323
.LBB3_321:                              ;   in Loop: Header=BB3_317 Depth=2
	s_mov_b32 s24, 0
	s_branch .LBB3_324
.LBB3_322:                              ;   in Loop: Header=BB3_317 Depth=2
	v_mov_b32_e32 v4, 0
	v_mov_b32_e32 v5, 0
.LBB3_323:                              ;   in Loop: Header=BB3_317 Depth=2
	s_mov_b64 s[4:5], s[10:11]
	s_mov_b32 s24, 0
	s_cbranch_execnz .LBB3_325
.LBB3_324:                              ;   in Loop: Header=BB3_317 Depth=2
	global_load_dwordx2 v[4:5], v54, s[10:11]
	s_add_i32 s24, s14, -8
.LBB3_325:                              ;   in Loop: Header=BB3_317 Depth=2
	s_add_u32 s16, s4, 8
	s_addc_u32 s17, s5, 0
	s_cmp_gt_u32 s24, 7
	s_cbranch_scc1 .LBB3_329
; %bb.326:                              ;   in Loop: Header=BB3_317 Depth=2
	s_cmp_eq_u32 s24, 0
	s_cbranch_scc1 .LBB3_330
; %bb.327:                              ;   in Loop: Header=BB3_317 Depth=2
	v_mov_b32_e32 v6, 0
	s_mov_b64 s[16:17], 0
	v_mov_b32_e32 v7, 0
	s_mov_b64 s[22:23], 0
.LBB3_328:                              ;   Parent Loop BB3_3 Depth=1
                                        ;     Parent Loop BB3_317 Depth=2
                                        ; =>    This Inner Loop Header: Depth=3
	s_add_u32 s42, s4, s22
	s_addc_u32 s43, s5, s23
	global_load_ubyte v8, v54, s[42:43]
	s_add_u32 s22, s22, 1
	s_addc_u32 s23, s23, 0
	s_waitcnt vmcnt(0)
	v_and_b32_e32 v53, 0xffff, v8
	v_lshlrev_b64 v[8:9], s16, v[53:54]
	s_add_u32 s16, s16, 8
	s_addc_u32 s17, s17, 0
	v_or_b32_e32 v6, v8, v6
	s_cmp_lg_u32 s24, s22
	v_or_b32_e32 v7, v9, v7
	s_cbranch_scc1 .LBB3_328
	s_branch .LBB3_331
.LBB3_329:                              ;   in Loop: Header=BB3_317 Depth=2
                                        ; implicit-def: $vgpr6_vgpr7
	s_mov_b32 s25, 0
	s_branch .LBB3_332
.LBB3_330:                              ;   in Loop: Header=BB3_317 Depth=2
	v_mov_b32_e32 v6, 0
	v_mov_b32_e32 v7, 0
.LBB3_331:                              ;   in Loop: Header=BB3_317 Depth=2
	s_mov_b64 s[16:17], s[4:5]
	s_mov_b32 s25, 0
	s_cbranch_execnz .LBB3_333
.LBB3_332:                              ;   in Loop: Header=BB3_317 Depth=2
	global_load_dwordx2 v[6:7], v54, s[4:5]
	s_add_i32 s25, s24, -8
.LBB3_333:                              ;   in Loop: Header=BB3_317 Depth=2
	s_add_u32 s4, s16, 8
	s_addc_u32 s5, s17, 0
	s_cmp_gt_u32 s25, 7
	s_cbranch_scc1 .LBB3_337
; %bb.334:                              ;   in Loop: Header=BB3_317 Depth=2
	s_cmp_eq_u32 s25, 0
	s_cbranch_scc1 .LBB3_338
; %bb.335:                              ;   in Loop: Header=BB3_317 Depth=2
	v_mov_b32_e32 v8, 0
	s_mov_b64 s[4:5], 0
	v_mov_b32_e32 v9, 0
	s_mov_b64 s[22:23], 0
.LBB3_336:                              ;   Parent Loop BB3_3 Depth=1
                                        ;     Parent Loop BB3_317 Depth=2
                                        ; =>    This Inner Loop Header: Depth=3
	s_add_u32 s42, s16, s22
	s_addc_u32 s43, s17, s23
	global_load_ubyte v10, v54, s[42:43]
	s_add_u32 s22, s22, 1
	s_addc_u32 s23, s23, 0
	s_waitcnt vmcnt(0)
	v_and_b32_e32 v53, 0xffff, v10
	v_lshlrev_b64 v[10:11], s4, v[53:54]
	s_add_u32 s4, s4, 8
	s_addc_u32 s5, s5, 0
	v_or_b32_e32 v8, v10, v8
	s_cmp_lg_u32 s25, s22
	v_or_b32_e32 v9, v11, v9
	s_cbranch_scc1 .LBB3_336
	s_branch .LBB3_339
.LBB3_337:                              ;   in Loop: Header=BB3_317 Depth=2
	s_mov_b32 s24, 0
	s_branch .LBB3_340
.LBB3_338:                              ;   in Loop: Header=BB3_317 Depth=2
	v_mov_b32_e32 v8, 0
	v_mov_b32_e32 v9, 0
.LBB3_339:                              ;   in Loop: Header=BB3_317 Depth=2
	s_mov_b64 s[4:5], s[16:17]
	s_mov_b32 s24, 0
	s_cbranch_execnz .LBB3_341
.LBB3_340:                              ;   in Loop: Header=BB3_317 Depth=2
	global_load_dwordx2 v[8:9], v54, s[16:17]
	s_add_i32 s24, s25, -8
.LBB3_341:                              ;   in Loop: Header=BB3_317 Depth=2
	s_add_u32 s16, s4, 8
	s_addc_u32 s17, s5, 0
	s_cmp_gt_u32 s24, 7
	s_cbranch_scc1 .LBB3_345
; %bb.342:                              ;   in Loop: Header=BB3_317 Depth=2
	s_cmp_eq_u32 s24, 0
	s_cbranch_scc1 .LBB3_346
; %bb.343:                              ;   in Loop: Header=BB3_317 Depth=2
	v_mov_b32_e32 v10, 0
	s_mov_b64 s[16:17], 0
	v_mov_b32_e32 v11, 0
	s_mov_b64 s[22:23], 0
.LBB3_344:                              ;   Parent Loop BB3_3 Depth=1
                                        ;     Parent Loop BB3_317 Depth=2
                                        ; =>    This Inner Loop Header: Depth=3
	s_add_u32 s42, s4, s22
	s_addc_u32 s43, s5, s23
	global_load_ubyte v12, v54, s[42:43]
	s_add_u32 s22, s22, 1
	s_addc_u32 s23, s23, 0
	s_waitcnt vmcnt(0)
	v_and_b32_e32 v53, 0xffff, v12
	v_lshlrev_b64 v[12:13], s16, v[53:54]
	s_add_u32 s16, s16, 8
	s_addc_u32 s17, s17, 0
	v_or_b32_e32 v10, v12, v10
	s_cmp_lg_u32 s24, s22
	v_or_b32_e32 v11, v13, v11
	s_cbranch_scc1 .LBB3_344
	s_branch .LBB3_347
.LBB3_345:                              ;   in Loop: Header=BB3_317 Depth=2
                                        ; implicit-def: $vgpr10_vgpr11
	s_mov_b32 s25, 0
	s_branch .LBB3_348
.LBB3_346:                              ;   in Loop: Header=BB3_317 Depth=2
	v_mov_b32_e32 v10, 0
	v_mov_b32_e32 v11, 0
.LBB3_347:                              ;   in Loop: Header=BB3_317 Depth=2
	s_mov_b64 s[16:17], s[4:5]
	s_mov_b32 s25, 0
	s_cbranch_execnz .LBB3_349
.LBB3_348:                              ;   in Loop: Header=BB3_317 Depth=2
	global_load_dwordx2 v[10:11], v54, s[4:5]
	s_add_i32 s25, s24, -8
.LBB3_349:                              ;   in Loop: Header=BB3_317 Depth=2
	s_add_u32 s4, s16, 8
	s_addc_u32 s5, s17, 0
	s_cmp_gt_u32 s25, 7
	s_cbranch_scc1 .LBB3_353
; %bb.350:                              ;   in Loop: Header=BB3_317 Depth=2
	s_cmp_eq_u32 s25, 0
	s_cbranch_scc1 .LBB3_354
; %bb.351:                              ;   in Loop: Header=BB3_317 Depth=2
	v_mov_b32_e32 v12, 0
	s_mov_b64 s[4:5], 0
	v_mov_b32_e32 v13, 0
	s_mov_b64 s[22:23], 0
.LBB3_352:                              ;   Parent Loop BB3_3 Depth=1
                                        ;     Parent Loop BB3_317 Depth=2
                                        ; =>    This Inner Loop Header: Depth=3
	s_add_u32 s42, s16, s22
	s_addc_u32 s43, s17, s23
	global_load_ubyte v14, v54, s[42:43]
	s_add_u32 s22, s22, 1
	s_addc_u32 s23, s23, 0
	s_waitcnt vmcnt(0)
	v_and_b32_e32 v53, 0xffff, v14
	v_lshlrev_b64 v[14:15], s4, v[53:54]
	s_add_u32 s4, s4, 8
	s_addc_u32 s5, s5, 0
	v_or_b32_e32 v12, v14, v12
	s_cmp_lg_u32 s25, s22
	v_or_b32_e32 v13, v15, v13
	s_cbranch_scc1 .LBB3_352
	s_branch .LBB3_355
.LBB3_353:                              ;   in Loop: Header=BB3_317 Depth=2
	s_mov_b32 s24, 0
	s_branch .LBB3_356
.LBB3_354:                              ;   in Loop: Header=BB3_317 Depth=2
	v_mov_b32_e32 v12, 0
	v_mov_b32_e32 v13, 0
.LBB3_355:                              ;   in Loop: Header=BB3_317 Depth=2
	s_mov_b64 s[4:5], s[16:17]
	s_mov_b32 s24, 0
	s_cbranch_execnz .LBB3_357
.LBB3_356:                              ;   in Loop: Header=BB3_317 Depth=2
	global_load_dwordx2 v[12:13], v54, s[16:17]
	s_add_i32 s24, s25, -8
.LBB3_357:                              ;   in Loop: Header=BB3_317 Depth=2
	s_add_u32 s16, s4, 8
	s_addc_u32 s17, s5, 0
	s_cmp_gt_u32 s24, 7
	s_cbranch_scc1 .LBB3_361
; %bb.358:                              ;   in Loop: Header=BB3_317 Depth=2
	s_cmp_eq_u32 s24, 0
	s_cbranch_scc1 .LBB3_362
; %bb.359:                              ;   in Loop: Header=BB3_317 Depth=2
	v_mov_b32_e32 v14, 0
	s_mov_b64 s[16:17], 0
	v_mov_b32_e32 v15, 0
	s_mov_b64 s[22:23], 0
.LBB3_360:                              ;   Parent Loop BB3_3 Depth=1
                                        ;     Parent Loop BB3_317 Depth=2
                                        ; =>    This Inner Loop Header: Depth=3
	s_add_u32 s42, s4, s22
	s_addc_u32 s43, s5, s23
	global_load_ubyte v16, v54, s[42:43]
	s_add_u32 s22, s22, 1
	s_addc_u32 s23, s23, 0
	s_waitcnt vmcnt(0)
	v_and_b32_e32 v53, 0xffff, v16
	v_lshlrev_b64 v[16:17], s16, v[53:54]
	s_add_u32 s16, s16, 8
	s_addc_u32 s17, s17, 0
	v_or_b32_e32 v14, v16, v14
	s_cmp_lg_u32 s24, s22
	v_or_b32_e32 v15, v17, v15
	s_cbranch_scc1 .LBB3_360
	s_branch .LBB3_363
.LBB3_361:                              ;   in Loop: Header=BB3_317 Depth=2
                                        ; implicit-def: $vgpr14_vgpr15
	s_mov_b32 s25, 0
	s_branch .LBB3_364
.LBB3_362:                              ;   in Loop: Header=BB3_317 Depth=2
	v_mov_b32_e32 v14, 0
	v_mov_b32_e32 v15, 0
.LBB3_363:                              ;   in Loop: Header=BB3_317 Depth=2
	s_mov_b64 s[16:17], s[4:5]
	s_mov_b32 s25, 0
	s_cbranch_execnz .LBB3_365
.LBB3_364:                              ;   in Loop: Header=BB3_317 Depth=2
	global_load_dwordx2 v[14:15], v54, s[4:5]
	s_add_i32 s25, s24, -8
.LBB3_365:                              ;   in Loop: Header=BB3_317 Depth=2
	s_cmp_gt_u32 s25, 7
	s_cbranch_scc1 .LBB3_369
; %bb.366:                              ;   in Loop: Header=BB3_317 Depth=2
	s_cmp_eq_u32 s25, 0
	s_cbranch_scc1 .LBB3_370
; %bb.367:                              ;   in Loop: Header=BB3_317 Depth=2
	v_mov_b32_e32 v16, 0
	s_mov_b64 s[4:5], 0
	v_mov_b32_e32 v17, 0
	s_mov_b64 s[22:23], s[16:17]
.LBB3_368:                              ;   Parent Loop BB3_3 Depth=1
                                        ;     Parent Loop BB3_317 Depth=2
                                        ; =>    This Inner Loop Header: Depth=3
	global_load_ubyte v18, v54, s[22:23]
	s_add_i32 s25, s25, -1
	s_waitcnt vmcnt(0)
	v_and_b32_e32 v53, 0xffff, v18
	v_lshlrev_b64 v[18:19], s4, v[53:54]
	s_add_u32 s4, s4, 8
	s_addc_u32 s5, s5, 0
	s_add_u32 s22, s22, 1
	s_addc_u32 s23, s23, 0
	v_or_b32_e32 v16, v18, v16
	s_cmp_lg_u32 s25, 0
	v_or_b32_e32 v17, v19, v17
	s_cbranch_scc1 .LBB3_368
	s_branch .LBB3_371
.LBB3_369:                              ;   in Loop: Header=BB3_317 Depth=2
	s_branch .LBB3_372
.LBB3_370:                              ;   in Loop: Header=BB3_317 Depth=2
	v_mov_b32_e32 v16, 0
	v_mov_b32_e32 v17, 0
.LBB3_371:                              ;   in Loop: Header=BB3_317 Depth=2
	s_cbranch_execnz .LBB3_373
.LBB3_372:                              ;   in Loop: Header=BB3_317 Depth=2
	global_load_dwordx2 v[16:17], v54, s[16:17]
.LBB3_373:                              ;   in Loop: Header=BB3_317 Depth=2
	v_readfirstlane_b32 s4, v47
	v_mov_b32_e32 v22, 0
	v_mov_b32_e32 v23, 0
	v_cmp_eq_u32_e64 s[4:5], s4, v47
	s_and_saveexec_b64 s[16:17], s[4:5]
	s_cbranch_execz .LBB3_379
; %bb.374:                              ;   in Loop: Header=BB3_317 Depth=2
	global_load_dwordx2 v[20:21], v54, s[8:9] offset:24 glc
	s_waitcnt vmcnt(0)
	buffer_wbinvl1_vol
	global_load_dwordx2 v[18:19], v54, s[8:9] offset:40
	global_load_dwordx2 v[22:23], v54, s[8:9]
	s_waitcnt vmcnt(1)
	v_and_b32_e32 v18, v18, v20
	v_and_b32_e32 v19, v19, v21
	v_mul_lo_u32 v19, v19, 24
	v_mul_hi_u32 v29, v18, 24
	v_mul_lo_u32 v18, v18, 24
	v_add_u32_e32 v19, v29, v19
	s_waitcnt vmcnt(0)
	v_add_co_u32_e32 v18, vcc, v22, v18
	v_addc_co_u32_e32 v19, vcc, v23, v19, vcc
	global_load_dwordx2 v[18:19], v[18:19], off glc
	s_waitcnt vmcnt(0)
	global_atomic_cmpswap_x2 v[22:23], v54, v[18:21], s[8:9] offset:24 glc
	s_waitcnt vmcnt(0)
	buffer_wbinvl1_vol
	v_cmp_ne_u64_e32 vcc, v[22:23], v[20:21]
	s_and_saveexec_b64 s[22:23], vcc
	s_cbranch_execz .LBB3_378
; %bb.375:                              ;   in Loop: Header=BB3_317 Depth=2
	s_mov_b64 s[24:25], 0
.LBB3_376:                              ;   Parent Loop BB3_3 Depth=1
                                        ;     Parent Loop BB3_317 Depth=2
                                        ; =>    This Inner Loop Header: Depth=3
	s_sleep 1
	global_load_dwordx2 v[18:19], v54, s[8:9] offset:40
	global_load_dwordx2 v[29:30], v54, s[8:9]
	v_mov_b32_e32 v20, v22
	v_mov_b32_e32 v21, v23
	s_waitcnt vmcnt(1)
	v_and_b32_e32 v18, v18, v20
	s_waitcnt vmcnt(0)
	v_mad_u64_u32 v[22:23], s[42:43], v18, 24, v[29:30]
	v_and_b32_e32 v19, v19, v21
	v_mov_b32_e32 v18, v23
	v_mad_u64_u32 v[18:19], s[42:43], v19, 24, v[18:19]
	v_mov_b32_e32 v23, v18
	global_load_dwordx2 v[18:19], v[22:23], off glc
	s_waitcnt vmcnt(0)
	global_atomic_cmpswap_x2 v[22:23], v54, v[18:21], s[8:9] offset:24 glc
	s_waitcnt vmcnt(0)
	buffer_wbinvl1_vol
	v_cmp_eq_u64_e32 vcc, v[22:23], v[20:21]
	s_or_b64 s[24:25], vcc, s[24:25]
	s_andn2_b64 exec, exec, s[24:25]
	s_cbranch_execnz .LBB3_376
; %bb.377:                              ;   in Loop: Header=BB3_317 Depth=2
	s_or_b64 exec, exec, s[24:25]
.LBB3_378:                              ;   in Loop: Header=BB3_317 Depth=2
	s_or_b64 exec, exec, s[22:23]
.LBB3_379:                              ;   in Loop: Header=BB3_317 Depth=2
	s_or_b64 exec, exec, s[16:17]
	global_load_dwordx2 v[29:30], v54, s[8:9] offset:40
	global_load_dwordx4 v[18:21], v54, s[8:9]
	v_readfirstlane_b32 s17, v23
	v_readfirstlane_b32 s16, v22
	s_mov_b64 s[22:23], exec
	s_waitcnt vmcnt(1)
	v_readfirstlane_b32 s24, v29
	v_readfirstlane_b32 s25, v30
	s_and_b64 s[24:25], s[24:25], s[16:17]
	s_mul_i32 s41, s25, 24
	s_mul_hi_u32 s42, s24, 24
	s_mul_i32 s43, s24, 24
	s_add_i32 s41, s42, s41
	v_mov_b32_e32 v23, s41
	s_waitcnt vmcnt(0)
	v_add_co_u32_e32 v22, vcc, s43, v18
	v_addc_co_u32_e32 v23, vcc, v19, v23, vcc
	s_and_saveexec_b64 s[42:43], s[4:5]
	s_cbranch_execz .LBB3_381
; %bb.380:                              ;   in Loop: Header=BB3_317 Depth=2
	v_mov_b32_e32 v38, s23
	v_mov_b32_e32 v37, s22
	global_store_dwordx4 v[22:23], v[37:40], off offset:8
.LBB3_381:                              ;   in Loop: Header=BB3_317 Depth=2
	s_or_b64 exec, exec, s[42:43]
	s_lshl_b64 s[22:23], s[24:25], 12
	v_mov_b32_e32 v29, s23
	v_add_co_u32_e32 v20, vcc, s22, v20
	v_addc_co_u32_e32 v21, vcc, v21, v29, vcc
	v_cmp_lt_u64_e64 vcc, s[12:13], 57
	s_lshl_b32 s22, s14, 2
	v_cndmask_b32_e32 v29, 0, v28, vcc
	s_add_i32 s22, s22, 28
	v_and_b32_e32 v2, 0xffffff1f, v2
	s_and_b32 s22, s22, 0x1e0
	v_or_b32_e32 v2, v2, v29
	v_or_b32_e32 v2, s22, v2
	v_readfirstlane_b32 s22, v20
	v_readfirstlane_b32 s23, v21
	s_nop 4
	global_store_dwordx4 v26, v[2:5], s[22:23]
	global_store_dwordx4 v26, v[6:9], s[22:23] offset:16
	global_store_dwordx4 v26, v[10:13], s[22:23] offset:32
	;; [unrolled: 1-line block ×3, first 2 shown]
	s_and_saveexec_b64 s[22:23], s[4:5]
	s_cbranch_execz .LBB3_389
; %bb.382:                              ;   in Loop: Header=BB3_317 Depth=2
	global_load_dwordx2 v[10:11], v54, s[8:9] offset:32 glc
	global_load_dwordx2 v[2:3], v54, s[8:9] offset:40
	v_mov_b32_e32 v8, s16
	v_mov_b32_e32 v9, s17
	s_waitcnt vmcnt(0)
	v_readfirstlane_b32 s24, v2
	v_readfirstlane_b32 s25, v3
	s_and_b64 s[24:25], s[24:25], s[16:17]
	s_mul_i32 s25, s25, 24
	s_mul_hi_u32 s41, s24, 24
	s_mul_i32 s24, s24, 24
	s_add_i32 s25, s41, s25
	v_mov_b32_e32 v2, s25
	v_add_co_u32_e32 v6, vcc, s24, v18
	v_addc_co_u32_e32 v7, vcc, v19, v2, vcc
	global_store_dwordx2 v[6:7], v[10:11], off
	s_waitcnt vmcnt(0)
	global_atomic_cmpswap_x2 v[4:5], v54, v[8:11], s[8:9] offset:32 glc
	s_waitcnt vmcnt(0)
	v_cmp_ne_u64_e32 vcc, v[4:5], v[10:11]
	s_and_saveexec_b64 s[24:25], vcc
	s_cbranch_execz .LBB3_385
; %bb.383:                              ;   in Loop: Header=BB3_317 Depth=2
	s_mov_b64 s[42:43], 0
.LBB3_384:                              ;   Parent Loop BB3_3 Depth=1
                                        ;     Parent Loop BB3_317 Depth=2
                                        ; =>    This Inner Loop Header: Depth=3
	s_sleep 1
	global_store_dwordx2 v[6:7], v[4:5], off
	v_mov_b32_e32 v2, s16
	v_mov_b32_e32 v3, s17
	s_waitcnt vmcnt(0)
	global_atomic_cmpswap_x2 v[2:3], v54, v[2:5], s[8:9] offset:32 glc
	s_waitcnt vmcnt(0)
	v_cmp_eq_u64_e32 vcc, v[2:3], v[4:5]
	v_mov_b32_e32 v5, v3
	s_or_b64 s[42:43], vcc, s[42:43]
	v_mov_b32_e32 v4, v2
	s_andn2_b64 exec, exec, s[42:43]
	s_cbranch_execnz .LBB3_384
.LBB3_385:                              ;   in Loop: Header=BB3_317 Depth=2
	s_or_b64 exec, exec, s[24:25]
	global_load_dwordx2 v[2:3], v54, s[8:9] offset:16
	s_mov_b64 s[42:43], exec
	v_mbcnt_lo_u32_b32 v4, s42, 0
	v_mbcnt_hi_u32_b32 v4, s43, v4
	v_cmp_eq_u32_e32 vcc, 0, v4
	s_and_saveexec_b64 s[24:25], vcc
	s_cbranch_execz .LBB3_387
; %bb.386:                              ;   in Loop: Header=BB3_317 Depth=2
	s_bcnt1_i32_b64 s41, s[42:43]
	v_mov_b32_e32 v53, s41
	s_waitcnt vmcnt(0)
	global_atomic_add_x2 v[2:3], v[53:54], off offset:8
.LBB3_387:                              ;   in Loop: Header=BB3_317 Depth=2
	s_or_b64 exec, exec, s[24:25]
	s_waitcnt vmcnt(0)
	global_load_dwordx2 v[4:5], v[2:3], off offset:16
	s_waitcnt vmcnt(0)
	v_cmp_eq_u64_e32 vcc, 0, v[4:5]
	s_cbranch_vccnz .LBB3_389
; %bb.388:                              ;   in Loop: Header=BB3_317 Depth=2
	global_load_dword v53, v[2:3], off offset:24
	s_waitcnt vmcnt(0)
	v_readfirstlane_b32 s24, v53
	s_and_b32 m0, s24, 0xffffff
	global_store_dwordx2 v[4:5], v[53:54], off
	s_sendmsg sendmsg(MSG_INTERRUPT)
.LBB3_389:                              ;   in Loop: Header=BB3_317 Depth=2
	s_or_b64 exec, exec, s[22:23]
	v_add_co_u32_e32 v2, vcc, v20, v26
	v_addc_co_u32_e32 v3, vcc, 0, v21, vcc
	s_branch .LBB3_393
.LBB3_390:                              ;   in Loop: Header=BB3_393 Depth=3
	s_or_b64 exec, exec, s[22:23]
	v_readfirstlane_b32 s22, v4
	s_cmp_eq_u32 s22, 0
	s_cbranch_scc1 .LBB3_392
; %bb.391:                              ;   in Loop: Header=BB3_393 Depth=3
	s_sleep 1
	s_cbranch_execnz .LBB3_393
	s_branch .LBB3_395
.LBB3_392:                              ;   in Loop: Header=BB3_317 Depth=2
	s_branch .LBB3_395
.LBB3_393:                              ;   Parent Loop BB3_3 Depth=1
                                        ;     Parent Loop BB3_317 Depth=2
                                        ; =>    This Inner Loop Header: Depth=3
	v_mov_b32_e32 v4, 1
	s_and_saveexec_b64 s[22:23], s[4:5]
	s_cbranch_execz .LBB3_390
; %bb.394:                              ;   in Loop: Header=BB3_393 Depth=3
	global_load_dword v4, v[22:23], off offset:20 glc
	s_waitcnt vmcnt(0)
	buffer_wbinvl1_vol
	v_and_b32_e32 v4, 1, v4
	s_branch .LBB3_390
.LBB3_395:                              ;   in Loop: Header=BB3_317 Depth=2
	global_load_dwordx2 v[2:3], v[2:3], off
	s_and_saveexec_b64 s[22:23], s[4:5]
	s_cbranch_execz .LBB3_316
; %bb.396:                              ;   in Loop: Header=BB3_317 Depth=2
	global_load_dwordx2 v[4:5], v54, s[8:9] offset:40
	global_load_dwordx2 v[12:13], v54, s[8:9] offset:24 glc
	global_load_dwordx2 v[6:7], v54, s[8:9]
	s_waitcnt vmcnt(2)
	v_readfirstlane_b32 s24, v4
	v_readfirstlane_b32 s25, v5
	s_add_u32 s41, s24, 1
	s_addc_u32 s42, s25, 0
	s_add_u32 s4, s41, s16
	s_addc_u32 s5, s42, s17
	s_cmp_eq_u64 s[4:5], 0
	s_cselect_b32 s5, s42, s5
	s_cselect_b32 s4, s41, s4
	s_and_b64 s[16:17], s[4:5], s[24:25]
	s_mul_i32 s17, s17, 24
	s_mul_hi_u32 s24, s16, 24
	s_mul_i32 s16, s16, 24
	s_add_i32 s17, s24, s17
	v_mov_b32_e32 v4, s17
	s_waitcnt vmcnt(0)
	v_add_co_u32_e32 v8, vcc, s16, v6
	v_addc_co_u32_e32 v9, vcc, v7, v4, vcc
	v_mov_b32_e32 v10, s4
	global_store_dwordx2 v[8:9], v[12:13], off
	v_mov_b32_e32 v11, s5
	s_waitcnt vmcnt(0)
	global_atomic_cmpswap_x2 v[6:7], v54, v[10:13], s[8:9] offset:24 glc
	s_waitcnt vmcnt(0)
	v_cmp_ne_u64_e32 vcc, v[6:7], v[12:13]
	s_and_b64 exec, exec, vcc
	s_cbranch_execz .LBB3_316
; %bb.397:                              ;   in Loop: Header=BB3_317 Depth=2
	s_mov_b64 s[16:17], 0
.LBB3_398:                              ;   Parent Loop BB3_3 Depth=1
                                        ;     Parent Loop BB3_317 Depth=2
                                        ; =>    This Inner Loop Header: Depth=3
	s_sleep 1
	global_store_dwordx2 v[8:9], v[6:7], off
	v_mov_b32_e32 v4, s4
	v_mov_b32_e32 v5, s5
	s_waitcnt vmcnt(0)
	global_atomic_cmpswap_x2 v[4:5], v54, v[4:7], s[8:9] offset:24 glc
	s_waitcnt vmcnt(0)
	v_cmp_eq_u64_e32 vcc, v[4:5], v[6:7]
	v_mov_b32_e32 v7, v5
	s_or_b64 s[16:17], vcc, s[16:17]
	v_mov_b32_e32 v6, v4
	s_andn2_b64 exec, exec, s[16:17]
	s_cbranch_execnz .LBB3_398
	s_branch .LBB3_316
.LBB3_399:                              ;   in Loop: Header=BB3_3 Depth=1
                                        ; implicit-def: $vgpr2_vgpr3
	s_cbranch_execz .LBB3_427
; %bb.400:                              ;   in Loop: Header=BB3_3 Depth=1
	v_readfirstlane_b32 s4, v47
	s_waitcnt vmcnt(0)
	v_mov_b32_e32 v2, 0
	v_mov_b32_e32 v3, 0
	v_cmp_eq_u32_e64 s[4:5], s4, v47
	s_and_saveexec_b64 s[10:11], s[4:5]
	s_cbranch_execz .LBB3_406
; %bb.401:                              ;   in Loop: Header=BB3_3 Depth=1
	global_load_dwordx2 v[4:5], v54, s[8:9] offset:24 glc
	s_waitcnt vmcnt(0)
	buffer_wbinvl1_vol
	global_load_dwordx2 v[2:3], v54, s[8:9] offset:40
	global_load_dwordx2 v[6:7], v54, s[8:9]
	s_waitcnt vmcnt(1)
	v_and_b32_e32 v2, v2, v4
	v_and_b32_e32 v3, v3, v5
	v_mul_lo_u32 v3, v3, 24
	v_mul_hi_u32 v8, v2, 24
	v_mul_lo_u32 v2, v2, 24
	v_add_u32_e32 v3, v8, v3
	s_waitcnt vmcnt(0)
	v_add_co_u32_e32 v2, vcc, v6, v2
	v_addc_co_u32_e32 v3, vcc, v7, v3, vcc
	global_load_dwordx2 v[2:3], v[2:3], off glc
	s_waitcnt vmcnt(0)
	global_atomic_cmpswap_x2 v[2:3], v54, v[2:5], s[8:9] offset:24 glc
	s_waitcnt vmcnt(0)
	buffer_wbinvl1_vol
	v_cmp_ne_u64_e32 vcc, v[2:3], v[4:5]
	s_and_saveexec_b64 s[12:13], vcc
	s_cbranch_execz .LBB3_405
; %bb.402:                              ;   in Loop: Header=BB3_3 Depth=1
	s_mov_b64 s[14:15], 0
.LBB3_403:                              ;   Parent Loop BB3_3 Depth=1
                                        ; =>  This Inner Loop Header: Depth=2
	s_sleep 1
	global_load_dwordx2 v[6:7], v54, s[8:9] offset:40
	global_load_dwordx2 v[8:9], v54, s[8:9]
	v_mov_b32_e32 v5, v3
	v_mov_b32_e32 v4, v2
	s_waitcnt vmcnt(1)
	v_and_b32_e32 v2, v6, v4
	s_waitcnt vmcnt(0)
	v_mad_u64_u32 v[2:3], s[16:17], v2, 24, v[8:9]
	v_and_b32_e32 v6, v7, v5
	v_mad_u64_u32 v[6:7], s[16:17], v6, 24, v[3:4]
	v_mov_b32_e32 v3, v6
	global_load_dwordx2 v[2:3], v[2:3], off glc
	s_waitcnt vmcnt(0)
	global_atomic_cmpswap_x2 v[2:3], v54, v[2:5], s[8:9] offset:24 glc
	s_waitcnt vmcnt(0)
	buffer_wbinvl1_vol
	v_cmp_eq_u64_e32 vcc, v[2:3], v[4:5]
	s_or_b64 s[14:15], vcc, s[14:15]
	s_andn2_b64 exec, exec, s[14:15]
	s_cbranch_execnz .LBB3_403
; %bb.404:                              ;   in Loop: Header=BB3_3 Depth=1
	s_or_b64 exec, exec, s[14:15]
.LBB3_405:                              ;   in Loop: Header=BB3_3 Depth=1
	s_or_b64 exec, exec, s[12:13]
.LBB3_406:                              ;   in Loop: Header=BB3_3 Depth=1
	s_or_b64 exec, exec, s[10:11]
	global_load_dwordx2 v[8:9], v54, s[8:9] offset:40
	global_load_dwordx4 v[4:7], v54, s[8:9]
	v_readfirstlane_b32 s11, v3
	v_readfirstlane_b32 s10, v2
	s_mov_b64 s[12:13], exec
	s_waitcnt vmcnt(1)
	v_readfirstlane_b32 s14, v8
	v_readfirstlane_b32 s15, v9
	s_and_b64 s[14:15], s[14:15], s[10:11]
	s_mul_i32 s16, s15, 24
	s_mul_hi_u32 s17, s14, 24
	s_mul_i32 s20, s14, 24
	s_add_i32 s16, s17, s16
	v_mov_b32_e32 v2, s16
	s_waitcnt vmcnt(0)
	v_add_co_u32_e32 v8, vcc, s20, v4
	v_addc_co_u32_e32 v9, vcc, v5, v2, vcc
	s_and_saveexec_b64 s[16:17], s[4:5]
	s_cbranch_execz .LBB3_408
; %bb.407:                              ;   in Loop: Header=BB3_3 Depth=1
	v_mov_b32_e32 v38, s13
	v_mov_b32_e32 v37, s12
	global_store_dwordx4 v[8:9], v[37:40], off offset:8
.LBB3_408:                              ;   in Loop: Header=BB3_3 Depth=1
	s_or_b64 exec, exec, s[16:17]
	s_lshl_b64 s[12:13], s[14:15], 12
	v_mov_b32_e32 v2, s13
	v_add_co_u32_e32 v6, vcc, s12, v6
	v_addc_co_u32_e32 v7, vcc, v7, v2, vcc
	v_and_or_b32 v0, v0, s48, 32
	v_mov_b32_e32 v2, v54
	v_mov_b32_e32 v3, v54
	v_readfirstlane_b32 s12, v6
	v_readfirstlane_b32 s13, v7
	s_mov_b32 s41, s40
	s_mov_b32 s42, s40
	s_mov_b32 s43, s40
	s_nop 1
	global_store_dwordx4 v26, v[0:3], s[12:13]
	s_nop 0
	v_mov_b32_e32 v0, s40
	v_mov_b32_e32 v1, s41
	;; [unrolled: 1-line block ×4, first 2 shown]
	global_store_dwordx4 v26, v[0:3], s[12:13] offset:16
	global_store_dwordx4 v26, v[0:3], s[12:13] offset:32
	global_store_dwordx4 v26, v[0:3], s[12:13] offset:48
	s_and_saveexec_b64 s[12:13], s[4:5]
	s_cbranch_execz .LBB3_416
; %bb.409:                              ;   in Loop: Header=BB3_3 Depth=1
	global_load_dwordx2 v[12:13], v54, s[8:9] offset:32 glc
	global_load_dwordx2 v[0:1], v54, s[8:9] offset:40
	v_mov_b32_e32 v10, s10
	v_mov_b32_e32 v11, s11
	s_waitcnt vmcnt(0)
	v_readfirstlane_b32 s14, v0
	v_readfirstlane_b32 s15, v1
	s_and_b64 s[14:15], s[14:15], s[10:11]
	s_mul_i32 s15, s15, 24
	s_mul_hi_u32 s16, s14, 24
	s_mul_i32 s14, s14, 24
	s_add_i32 s15, s16, s15
	v_mov_b32_e32 v0, s15
	v_add_co_u32_e32 v4, vcc, s14, v4
	v_addc_co_u32_e32 v5, vcc, v5, v0, vcc
	global_store_dwordx2 v[4:5], v[12:13], off
	s_waitcnt vmcnt(0)
	global_atomic_cmpswap_x2 v[2:3], v54, v[10:13], s[8:9] offset:32 glc
	s_waitcnt vmcnt(0)
	v_cmp_ne_u64_e32 vcc, v[2:3], v[12:13]
	s_and_saveexec_b64 s[14:15], vcc
	s_cbranch_execz .LBB3_412
; %bb.410:                              ;   in Loop: Header=BB3_3 Depth=1
	s_mov_b64 s[16:17], 0
.LBB3_411:                              ;   Parent Loop BB3_3 Depth=1
                                        ; =>  This Inner Loop Header: Depth=2
	s_sleep 1
	global_store_dwordx2 v[4:5], v[2:3], off
	v_mov_b32_e32 v0, s10
	v_mov_b32_e32 v1, s11
	s_waitcnt vmcnt(0)
	global_atomic_cmpswap_x2 v[0:1], v54, v[0:3], s[8:9] offset:32 glc
	s_waitcnt vmcnt(0)
	v_cmp_eq_u64_e32 vcc, v[0:1], v[2:3]
	v_mov_b32_e32 v3, v1
	s_or_b64 s[16:17], vcc, s[16:17]
	v_mov_b32_e32 v2, v0
	s_andn2_b64 exec, exec, s[16:17]
	s_cbranch_execnz .LBB3_411
.LBB3_412:                              ;   in Loop: Header=BB3_3 Depth=1
	s_or_b64 exec, exec, s[14:15]
	global_load_dwordx2 v[0:1], v54, s[8:9] offset:16
	s_mov_b64 s[16:17], exec
	v_mbcnt_lo_u32_b32 v2, s16, 0
	v_mbcnt_hi_u32_b32 v2, s17, v2
	v_cmp_eq_u32_e32 vcc, 0, v2
	s_and_saveexec_b64 s[14:15], vcc
	s_cbranch_execz .LBB3_414
; %bb.413:                              ;   in Loop: Header=BB3_3 Depth=1
	s_bcnt1_i32_b64 s16, s[16:17]
	v_mov_b32_e32 v53, s16
	s_waitcnt vmcnt(0)
	global_atomic_add_x2 v[0:1], v[53:54], off offset:8
.LBB3_414:                              ;   in Loop: Header=BB3_3 Depth=1
	s_or_b64 exec, exec, s[14:15]
	s_waitcnt vmcnt(0)
	global_load_dwordx2 v[2:3], v[0:1], off offset:16
	s_waitcnt vmcnt(0)
	v_cmp_eq_u64_e32 vcc, 0, v[2:3]
	s_cbranch_vccnz .LBB3_416
; %bb.415:                              ;   in Loop: Header=BB3_3 Depth=1
	global_load_dword v53, v[0:1], off offset:24
	s_waitcnt vmcnt(0)
	v_readfirstlane_b32 s14, v53
	s_and_b32 m0, s14, 0xffffff
	global_store_dwordx2 v[2:3], v[53:54], off
	s_sendmsg sendmsg(MSG_INTERRUPT)
.LBB3_416:                              ;   in Loop: Header=BB3_3 Depth=1
	s_or_b64 exec, exec, s[12:13]
	v_add_co_u32_e32 v0, vcc, v6, v26
	v_addc_co_u32_e32 v1, vcc, 0, v7, vcc
	s_branch .LBB3_420
.LBB3_417:                              ;   in Loop: Header=BB3_420 Depth=2
	s_or_b64 exec, exec, s[12:13]
	v_readfirstlane_b32 s12, v2
	s_cmp_eq_u32 s12, 0
	s_cbranch_scc1 .LBB3_419
; %bb.418:                              ;   in Loop: Header=BB3_420 Depth=2
	s_sleep 1
	s_cbranch_execnz .LBB3_420
	s_branch .LBB3_422
.LBB3_419:                              ;   in Loop: Header=BB3_3 Depth=1
	s_branch .LBB3_422
.LBB3_420:                              ;   Parent Loop BB3_3 Depth=1
                                        ; =>  This Inner Loop Header: Depth=2
	v_mov_b32_e32 v2, 1
	s_and_saveexec_b64 s[12:13], s[4:5]
	s_cbranch_execz .LBB3_417
; %bb.421:                              ;   in Loop: Header=BB3_420 Depth=2
	global_load_dword v2, v[8:9], off offset:20 glc
	s_waitcnt vmcnt(0)
	buffer_wbinvl1_vol
	v_and_b32_e32 v2, 1, v2
	s_branch .LBB3_417
.LBB3_422:                              ;   in Loop: Header=BB3_3 Depth=1
	global_load_dwordx2 v[2:3], v[0:1], off
	s_and_saveexec_b64 s[12:13], s[4:5]
	s_cbranch_execz .LBB3_426
; %bb.423:                              ;   in Loop: Header=BB3_3 Depth=1
	global_load_dwordx2 v[0:1], v54, s[8:9] offset:40
	global_load_dwordx2 v[8:9], v54, s[8:9] offset:24 glc
	global_load_dwordx2 v[4:5], v54, s[8:9]
	s_waitcnt vmcnt(2)
	v_readfirstlane_b32 s14, v0
	v_readfirstlane_b32 s15, v1
	s_add_u32 s16, s14, 1
	s_addc_u32 s17, s15, 0
	s_add_u32 s4, s16, s10
	s_addc_u32 s5, s17, s11
	s_cmp_eq_u64 s[4:5], 0
	s_cselect_b32 s5, s17, s5
	s_cselect_b32 s4, s16, s4
	s_and_b64 s[10:11], s[4:5], s[14:15]
	s_mul_i32 s11, s11, 24
	s_mul_hi_u32 s14, s10, 24
	s_mul_i32 s10, s10, 24
	s_add_i32 s11, s14, s11
	v_mov_b32_e32 v1, s11
	s_waitcnt vmcnt(0)
	v_add_co_u32_e32 v0, vcc, s10, v4
	v_addc_co_u32_e32 v1, vcc, v5, v1, vcc
	v_mov_b32_e32 v6, s4
	global_store_dwordx2 v[0:1], v[8:9], off
	v_mov_b32_e32 v7, s5
	s_waitcnt vmcnt(0)
	global_atomic_cmpswap_x2 v[6:7], v54, v[6:9], s[8:9] offset:24 glc
	s_waitcnt vmcnt(0)
	v_cmp_ne_u64_e32 vcc, v[6:7], v[8:9]
	s_and_b64 exec, exec, vcc
	s_cbranch_execz .LBB3_426
; %bb.424:                              ;   in Loop: Header=BB3_3 Depth=1
	s_mov_b64 s[10:11], 0
.LBB3_425:                              ;   Parent Loop BB3_3 Depth=1
                                        ; =>  This Inner Loop Header: Depth=2
	s_sleep 1
	global_store_dwordx2 v[0:1], v[6:7], off
	v_mov_b32_e32 v4, s4
	v_mov_b32_e32 v5, s5
	s_waitcnt vmcnt(0)
	global_atomic_cmpswap_x2 v[4:5], v54, v[4:7], s[8:9] offset:24 glc
	s_waitcnt vmcnt(0)
	v_cmp_eq_u64_e32 vcc, v[4:5], v[6:7]
	v_mov_b32_e32 v7, v5
	s_or_b64 s[10:11], vcc, s[10:11]
	v_mov_b32_e32 v6, v4
	s_andn2_b64 exec, exec, s[10:11]
	s_cbranch_execnz .LBB3_425
.LBB3_426:                              ;   in Loop: Header=BB3_3 Depth=1
	s_or_b64 exec, exec, s[12:13]
.LBB3_427:                              ;   in Loop: Header=BB3_3 Depth=1
	v_readfirstlane_b32 s4, v47
	s_waitcnt vmcnt(0)
	v_mov_b32_e32 v0, 0
	v_mov_b32_e32 v1, 0
	v_cmp_eq_u32_e64 s[4:5], s4, v47
	s_and_saveexec_b64 s[10:11], s[4:5]
	s_cbranch_execz .LBB3_433
; %bb.428:                              ;   in Loop: Header=BB3_3 Depth=1
	global_load_dwordx2 v[6:7], v54, s[8:9] offset:24 glc
	s_waitcnt vmcnt(0)
	buffer_wbinvl1_vol
	global_load_dwordx2 v[0:1], v54, s[8:9] offset:40
	global_load_dwordx2 v[4:5], v54, s[8:9]
	s_waitcnt vmcnt(1)
	v_and_b32_e32 v0, v0, v6
	v_and_b32_e32 v1, v1, v7
	v_mul_lo_u32 v1, v1, 24
	v_mul_hi_u32 v8, v0, 24
	v_mul_lo_u32 v0, v0, 24
	v_add_u32_e32 v1, v8, v1
	s_waitcnt vmcnt(0)
	v_add_co_u32_e32 v0, vcc, v4, v0
	v_addc_co_u32_e32 v1, vcc, v5, v1, vcc
	global_load_dwordx2 v[4:5], v[0:1], off glc
	s_waitcnt vmcnt(0)
	global_atomic_cmpswap_x2 v[0:1], v54, v[4:7], s[8:9] offset:24 glc
	s_waitcnt vmcnt(0)
	buffer_wbinvl1_vol
	v_cmp_ne_u64_e32 vcc, v[0:1], v[6:7]
	s_and_saveexec_b64 s[12:13], vcc
	s_cbranch_execz .LBB3_432
; %bb.429:                              ;   in Loop: Header=BB3_3 Depth=1
	s_mov_b64 s[14:15], 0
.LBB3_430:                              ;   Parent Loop BB3_3 Depth=1
                                        ; =>  This Inner Loop Header: Depth=2
	s_sleep 1
	global_load_dwordx2 v[4:5], v54, s[8:9] offset:40
	global_load_dwordx2 v[8:9], v54, s[8:9]
	v_mov_b32_e32 v7, v1
	v_mov_b32_e32 v6, v0
	s_waitcnt vmcnt(1)
	v_and_b32_e32 v0, v4, v6
	s_waitcnt vmcnt(0)
	v_mad_u64_u32 v[0:1], s[16:17], v0, 24, v[8:9]
	v_and_b32_e32 v4, v5, v7
	v_mad_u64_u32 v[4:5], s[16:17], v4, 24, v[1:2]
	v_mov_b32_e32 v1, v4
	global_load_dwordx2 v[4:5], v[0:1], off glc
	s_waitcnt vmcnt(0)
	global_atomic_cmpswap_x2 v[0:1], v54, v[4:7], s[8:9] offset:24 glc
	s_waitcnt vmcnt(0)
	buffer_wbinvl1_vol
	v_cmp_eq_u64_e32 vcc, v[0:1], v[6:7]
	s_or_b64 s[14:15], vcc, s[14:15]
	s_andn2_b64 exec, exec, s[14:15]
	s_cbranch_execnz .LBB3_430
; %bb.431:                              ;   in Loop: Header=BB3_3 Depth=1
	s_or_b64 exec, exec, s[14:15]
.LBB3_432:                              ;   in Loop: Header=BB3_3 Depth=1
	s_or_b64 exec, exec, s[12:13]
.LBB3_433:                              ;   in Loop: Header=BB3_3 Depth=1
	s_or_b64 exec, exec, s[10:11]
	global_load_dwordx2 v[4:5], v54, s[8:9] offset:40
	global_load_dwordx4 v[6:9], v54, s[8:9]
	v_readfirstlane_b32 s11, v1
	v_readfirstlane_b32 s10, v0
	s_mov_b64 s[12:13], exec
	s_waitcnt vmcnt(1)
	v_readfirstlane_b32 s14, v4
	v_readfirstlane_b32 s15, v5
	s_and_b64 s[14:15], s[14:15], s[10:11]
	s_mul_i32 s16, s15, 24
	s_mul_hi_u32 s17, s14, 24
	s_mul_i32 s20, s14, 24
	s_add_i32 s16, s17, s16
	v_mov_b32_e32 v0, s16
	s_waitcnt vmcnt(0)
	v_add_co_u32_e32 v10, vcc, s20, v6
	v_addc_co_u32_e32 v11, vcc, v7, v0, vcc
	s_and_saveexec_b64 s[16:17], s[4:5]
	s_cbranch_execz .LBB3_435
; %bb.434:                              ;   in Loop: Header=BB3_3 Depth=1
	v_mov_b32_e32 v38, s13
	v_mov_b32_e32 v37, s12
	global_store_dwordx4 v[10:11], v[37:40], off offset:8
.LBB3_435:                              ;   in Loop: Header=BB3_3 Depth=1
	s_or_b64 exec, exec, s[16:17]
	s_lshl_b64 s[12:13], s[14:15], 12
	v_mov_b32_e32 v0, s13
	v_add_co_u32_e32 v8, vcc, s12, v8
	v_addc_co_u32_e32 v9, vcc, v9, v0, vcc
	v_and_or_b32 v2, v2, s48, 32
	v_mov_b32_e32 v4, v50
	v_mov_b32_e32 v5, v51
	v_readfirstlane_b32 s12, v8
	v_readfirstlane_b32 s13, v9
	s_mov_b32 s41, s40
	s_mov_b32 s42, s40
	;; [unrolled: 1-line block ×3, first 2 shown]
	s_nop 1
	global_store_dwordx4 v26, v[2:5], s[12:13]
	v_mov_b32_e32 v0, s40
	v_mov_b32_e32 v1, s41
	;; [unrolled: 1-line block ×4, first 2 shown]
	global_store_dwordx4 v26, v[0:3], s[12:13] offset:16
	global_store_dwordx4 v26, v[0:3], s[12:13] offset:32
	;; [unrolled: 1-line block ×3, first 2 shown]
	s_and_saveexec_b64 s[12:13], s[4:5]
	s_cbranch_execz .LBB3_443
; %bb.436:                              ;   in Loop: Header=BB3_3 Depth=1
	global_load_dwordx2 v[14:15], v54, s[8:9] offset:32 glc
	global_load_dwordx2 v[0:1], v54, s[8:9] offset:40
	v_mov_b32_e32 v12, s10
	v_mov_b32_e32 v13, s11
	s_waitcnt vmcnt(0)
	v_readfirstlane_b32 s14, v0
	v_readfirstlane_b32 s15, v1
	s_and_b64 s[14:15], s[14:15], s[10:11]
	s_mul_i32 s15, s15, 24
	s_mul_hi_u32 s16, s14, 24
	s_mul_i32 s14, s14, 24
	s_add_i32 s15, s16, s15
	v_mov_b32_e32 v0, s15
	v_add_co_u32_e32 v4, vcc, s14, v6
	v_addc_co_u32_e32 v5, vcc, v7, v0, vcc
	global_store_dwordx2 v[4:5], v[14:15], off
	s_waitcnt vmcnt(0)
	global_atomic_cmpswap_x2 v[2:3], v54, v[12:15], s[8:9] offset:32 glc
	s_waitcnt vmcnt(0)
	v_cmp_ne_u64_e32 vcc, v[2:3], v[14:15]
	s_and_saveexec_b64 s[14:15], vcc
	s_cbranch_execz .LBB3_439
; %bb.437:                              ;   in Loop: Header=BB3_3 Depth=1
	s_mov_b64 s[16:17], 0
.LBB3_438:                              ;   Parent Loop BB3_3 Depth=1
                                        ; =>  This Inner Loop Header: Depth=2
	s_sleep 1
	global_store_dwordx2 v[4:5], v[2:3], off
	v_mov_b32_e32 v0, s10
	v_mov_b32_e32 v1, s11
	s_waitcnt vmcnt(0)
	global_atomic_cmpswap_x2 v[0:1], v54, v[0:3], s[8:9] offset:32 glc
	s_waitcnt vmcnt(0)
	v_cmp_eq_u64_e32 vcc, v[0:1], v[2:3]
	v_mov_b32_e32 v3, v1
	s_or_b64 s[16:17], vcc, s[16:17]
	v_mov_b32_e32 v2, v0
	s_andn2_b64 exec, exec, s[16:17]
	s_cbranch_execnz .LBB3_438
.LBB3_439:                              ;   in Loop: Header=BB3_3 Depth=1
	s_or_b64 exec, exec, s[14:15]
	global_load_dwordx2 v[0:1], v54, s[8:9] offset:16
	s_mov_b64 s[16:17], exec
	v_mbcnt_lo_u32_b32 v2, s16, 0
	v_mbcnt_hi_u32_b32 v2, s17, v2
	v_cmp_eq_u32_e32 vcc, 0, v2
	s_and_saveexec_b64 s[14:15], vcc
	s_cbranch_execz .LBB3_441
; %bb.440:                              ;   in Loop: Header=BB3_3 Depth=1
	s_bcnt1_i32_b64 s16, s[16:17]
	v_mov_b32_e32 v53, s16
	s_waitcnt vmcnt(0)
	global_atomic_add_x2 v[0:1], v[53:54], off offset:8
.LBB3_441:                              ;   in Loop: Header=BB3_3 Depth=1
	s_or_b64 exec, exec, s[14:15]
	s_waitcnt vmcnt(0)
	global_load_dwordx2 v[2:3], v[0:1], off offset:16
	s_waitcnt vmcnt(0)
	v_cmp_eq_u64_e32 vcc, 0, v[2:3]
	s_cbranch_vccnz .LBB3_443
; %bb.442:                              ;   in Loop: Header=BB3_3 Depth=1
	global_load_dword v53, v[0:1], off offset:24
	s_waitcnt vmcnt(0)
	v_readfirstlane_b32 s14, v53
	s_and_b32 m0, s14, 0xffffff
	global_store_dwordx2 v[2:3], v[53:54], off
	s_sendmsg sendmsg(MSG_INTERRUPT)
.LBB3_443:                              ;   in Loop: Header=BB3_3 Depth=1
	s_or_b64 exec, exec, s[12:13]
	v_add_co_u32_e32 v0, vcc, v8, v26
	v_addc_co_u32_e32 v1, vcc, 0, v9, vcc
	s_branch .LBB3_447
.LBB3_444:                              ;   in Loop: Header=BB3_447 Depth=2
	s_or_b64 exec, exec, s[12:13]
	v_readfirstlane_b32 s12, v2
	s_cmp_eq_u32 s12, 0
	s_cbranch_scc1 .LBB3_446
; %bb.445:                              ;   in Loop: Header=BB3_447 Depth=2
	s_sleep 1
	s_cbranch_execnz .LBB3_447
	s_branch .LBB3_449
.LBB3_446:                              ;   in Loop: Header=BB3_3 Depth=1
	s_branch .LBB3_449
.LBB3_447:                              ;   Parent Loop BB3_3 Depth=1
                                        ; =>  This Inner Loop Header: Depth=2
	v_mov_b32_e32 v2, 1
	s_and_saveexec_b64 s[12:13], s[4:5]
	s_cbranch_execz .LBB3_444
; %bb.448:                              ;   in Loop: Header=BB3_447 Depth=2
	global_load_dword v2, v[10:11], off offset:20 glc
	s_waitcnt vmcnt(0)
	buffer_wbinvl1_vol
	v_and_b32_e32 v2, 1, v2
	s_branch .LBB3_444
.LBB3_449:                              ;   in Loop: Header=BB3_3 Depth=1
	global_load_dwordx2 v[48:49], v[0:1], off
	s_and_saveexec_b64 s[12:13], s[4:5]
	s_cbranch_execz .LBB3_453
; %bb.450:                              ;   in Loop: Header=BB3_3 Depth=1
	global_load_dwordx2 v[0:1], v54, s[8:9] offset:40
	global_load_dwordx2 v[8:9], v54, s[8:9] offset:24 glc
	global_load_dwordx2 v[2:3], v54, s[8:9]
	s_waitcnt vmcnt(2)
	v_readfirstlane_b32 s14, v0
	v_readfirstlane_b32 s15, v1
	s_add_u32 s16, s14, 1
	s_addc_u32 s17, s15, 0
	s_add_u32 s4, s16, s10
	s_addc_u32 s5, s17, s11
	s_cmp_eq_u64 s[4:5], 0
	s_cselect_b32 s5, s17, s5
	s_cselect_b32 s4, s16, s4
	s_and_b64 s[10:11], s[4:5], s[14:15]
	s_mul_i32 s11, s11, 24
	s_mul_hi_u32 s14, s10, 24
	s_mul_i32 s10, s10, 24
	s_add_i32 s11, s14, s11
	v_mov_b32_e32 v0, s11
	s_waitcnt vmcnt(0)
	v_add_co_u32_e32 v4, vcc, s10, v2
	v_addc_co_u32_e32 v5, vcc, v3, v0, vcc
	v_mov_b32_e32 v6, s4
	global_store_dwordx2 v[4:5], v[8:9], off
	v_mov_b32_e32 v7, s5
	s_waitcnt vmcnt(0)
	global_atomic_cmpswap_x2 v[2:3], v54, v[6:9], s[8:9] offset:24 glc
	s_waitcnt vmcnt(0)
	v_cmp_ne_u64_e32 vcc, v[2:3], v[8:9]
	s_and_b64 exec, exec, vcc
	s_cbranch_execz .LBB3_453
; %bb.451:                              ;   in Loop: Header=BB3_3 Depth=1
	s_mov_b64 s[10:11], 0
.LBB3_452:                              ;   Parent Loop BB3_3 Depth=1
                                        ; =>  This Inner Loop Header: Depth=2
	s_sleep 1
	global_store_dwordx2 v[4:5], v[2:3], off
	v_mov_b32_e32 v0, s4
	v_mov_b32_e32 v1, s5
	s_waitcnt vmcnt(0)
	global_atomic_cmpswap_x2 v[0:1], v54, v[0:3], s[8:9] offset:24 glc
	s_waitcnt vmcnt(0)
	v_cmp_eq_u64_e32 vcc, v[0:1], v[2:3]
	v_mov_b32_e32 v3, v1
	s_or_b64 s[10:11], vcc, s[10:11]
	v_mov_b32_e32 v2, v0
	s_andn2_b64 exec, exec, s[10:11]
	s_cbranch_execnz .LBB3_452
.LBB3_453:                              ;   in Loop: Header=BB3_3 Depth=1
	s_or_b64 exec, exec, s[12:13]
	v_readfirstlane_b32 s4, v47
	v_mov_b32_e32 v4, 0
	v_mov_b32_e32 v5, 0
	v_cmp_eq_u32_e64 s[4:5], s4, v47
	s_and_saveexec_b64 s[10:11], s[4:5]
	s_cbranch_execz .LBB3_459
; %bb.454:                              ;   in Loop: Header=BB3_3 Depth=1
	global_load_dwordx2 v[2:3], v54, s[8:9] offset:24 glc
	s_waitcnt vmcnt(0)
	buffer_wbinvl1_vol
	global_load_dwordx2 v[0:1], v54, s[8:9] offset:40
	global_load_dwordx2 v[4:5], v54, s[8:9]
	s_waitcnt vmcnt(1)
	v_and_b32_e32 v0, v0, v2
	v_and_b32_e32 v1, v1, v3
	v_mul_lo_u32 v1, v1, 24
	v_mul_hi_u32 v6, v0, 24
	v_mul_lo_u32 v0, v0, 24
	v_add_u32_e32 v1, v6, v1
	s_waitcnt vmcnt(0)
	v_add_co_u32_e32 v0, vcc, v4, v0
	v_addc_co_u32_e32 v1, vcc, v5, v1, vcc
	global_load_dwordx2 v[0:1], v[0:1], off glc
	s_waitcnt vmcnt(0)
	global_atomic_cmpswap_x2 v[4:5], v54, v[0:3], s[8:9] offset:24 glc
	s_waitcnt vmcnt(0)
	buffer_wbinvl1_vol
	v_cmp_ne_u64_e32 vcc, v[4:5], v[2:3]
	s_and_saveexec_b64 s[12:13], vcc
	s_cbranch_execz .LBB3_458
; %bb.455:                              ;   in Loop: Header=BB3_3 Depth=1
	s_mov_b64 s[14:15], 0
.LBB3_456:                              ;   Parent Loop BB3_3 Depth=1
                                        ; =>  This Inner Loop Header: Depth=2
	s_sleep 1
	global_load_dwordx2 v[0:1], v54, s[8:9] offset:40
	global_load_dwordx2 v[6:7], v54, s[8:9]
	v_mov_b32_e32 v2, v4
	v_mov_b32_e32 v3, v5
	s_waitcnt vmcnt(1)
	v_and_b32_e32 v0, v0, v2
	s_waitcnt vmcnt(0)
	v_mad_u64_u32 v[4:5], s[16:17], v0, 24, v[6:7]
	v_and_b32_e32 v1, v1, v3
	v_mov_b32_e32 v0, v5
	v_mad_u64_u32 v[0:1], s[16:17], v1, 24, v[0:1]
	v_mov_b32_e32 v5, v0
	global_load_dwordx2 v[0:1], v[4:5], off glc
	s_waitcnt vmcnt(0)
	global_atomic_cmpswap_x2 v[4:5], v54, v[0:3], s[8:9] offset:24 glc
	s_waitcnt vmcnt(0)
	buffer_wbinvl1_vol
	v_cmp_eq_u64_e32 vcc, v[4:5], v[2:3]
	s_or_b64 s[14:15], vcc, s[14:15]
	s_andn2_b64 exec, exec, s[14:15]
	s_cbranch_execnz .LBB3_456
; %bb.457:                              ;   in Loop: Header=BB3_3 Depth=1
	s_or_b64 exec, exec, s[14:15]
.LBB3_458:                              ;   in Loop: Header=BB3_3 Depth=1
	s_or_b64 exec, exec, s[12:13]
.LBB3_459:                              ;   in Loop: Header=BB3_3 Depth=1
	s_or_b64 exec, exec, s[10:11]
	global_load_dwordx2 v[6:7], v54, s[8:9] offset:40
	global_load_dwordx4 v[0:3], v54, s[8:9]
	v_readfirstlane_b32 s11, v5
	v_readfirstlane_b32 s10, v4
	s_mov_b64 s[12:13], exec
	s_waitcnt vmcnt(1)
	v_readfirstlane_b32 s14, v6
	v_readfirstlane_b32 s15, v7
	s_and_b64 s[14:15], s[14:15], s[10:11]
	s_mul_i32 s16, s15, 24
	s_mul_hi_u32 s17, s14, 24
	s_mul_i32 s20, s14, 24
	s_add_i32 s16, s17, s16
	v_mov_b32_e32 v5, s16
	s_waitcnt vmcnt(0)
	v_add_co_u32_e32 v4, vcc, s20, v0
	v_addc_co_u32_e32 v5, vcc, v1, v5, vcc
	s_and_saveexec_b64 s[16:17], s[4:5]
	s_cbranch_execz .LBB3_461
; %bb.460:                              ;   in Loop: Header=BB3_3 Depth=1
	v_mov_b32_e32 v38, s13
	v_mov_b32_e32 v37, s12
	global_store_dwordx4 v[4:5], v[37:40], off offset:8
.LBB3_461:                              ;   in Loop: Header=BB3_3 Depth=1
	s_or_b64 exec, exec, s[16:17]
	s_lshl_b64 s[12:13], s[14:15], 12
	v_mov_b32_e32 v6, s13
	v_add_co_u32_e32 v8, vcc, s12, v2
	v_addc_co_u32_e32 v9, vcc, v3, v6, vcc
	s_mov_b32 s41, s40
	s_mov_b32 s42, s40
	;; [unrolled: 1-line block ×3, first 2 shown]
	v_mov_b32_e32 v10, s40
	v_and_or_b32 v48, v48, s48, 32
	v_readfirstlane_b32 s12, v8
	v_readfirstlane_b32 s13, v9
	v_mov_b32_e32 v11, s41
	v_mov_b32_e32 v12, s42
	;; [unrolled: 1-line block ×3, first 2 shown]
	s_nop 1
	global_store_dwordx4 v26, v[48:51], s[12:13]
	global_store_dwordx4 v26, v[10:13], s[12:13] offset:16
	global_store_dwordx4 v26, v[10:13], s[12:13] offset:32
	;; [unrolled: 1-line block ×3, first 2 shown]
	s_and_saveexec_b64 s[12:13], s[4:5]
	s_cbranch_execz .LBB3_469
; %bb.462:                              ;   in Loop: Header=BB3_3 Depth=1
	global_load_dwordx2 v[12:13], v54, s[8:9] offset:32 glc
	global_load_dwordx2 v[2:3], v54, s[8:9] offset:40
	v_mov_b32_e32 v10, s10
	v_mov_b32_e32 v11, s11
	s_waitcnt vmcnt(0)
	v_readfirstlane_b32 s14, v2
	v_readfirstlane_b32 s15, v3
	s_and_b64 s[14:15], s[14:15], s[10:11]
	s_mul_i32 s15, s15, 24
	s_mul_hi_u32 s16, s14, 24
	s_mul_i32 s14, s14, 24
	s_add_i32 s15, s16, s15
	v_mov_b32_e32 v2, s15
	v_add_co_u32_e32 v6, vcc, s14, v0
	v_addc_co_u32_e32 v7, vcc, v1, v2, vcc
	global_store_dwordx2 v[6:7], v[12:13], off
	s_waitcnt vmcnt(0)
	global_atomic_cmpswap_x2 v[2:3], v54, v[10:13], s[8:9] offset:32 glc
	s_waitcnt vmcnt(0)
	v_cmp_ne_u64_e32 vcc, v[2:3], v[12:13]
	s_and_saveexec_b64 s[14:15], vcc
	s_cbranch_execz .LBB3_465
; %bb.463:                              ;   in Loop: Header=BB3_3 Depth=1
	s_mov_b64 s[16:17], 0
.LBB3_464:                              ;   Parent Loop BB3_3 Depth=1
                                        ; =>  This Inner Loop Header: Depth=2
	s_sleep 1
	global_store_dwordx2 v[6:7], v[2:3], off
	v_mov_b32_e32 v0, s10
	v_mov_b32_e32 v1, s11
	s_waitcnt vmcnt(0)
	global_atomic_cmpswap_x2 v[0:1], v54, v[0:3], s[8:9] offset:32 glc
	s_waitcnt vmcnt(0)
	v_cmp_eq_u64_e32 vcc, v[0:1], v[2:3]
	v_mov_b32_e32 v3, v1
	s_or_b64 s[16:17], vcc, s[16:17]
	v_mov_b32_e32 v2, v0
	s_andn2_b64 exec, exec, s[16:17]
	s_cbranch_execnz .LBB3_464
.LBB3_465:                              ;   in Loop: Header=BB3_3 Depth=1
	s_or_b64 exec, exec, s[14:15]
	global_load_dwordx2 v[0:1], v54, s[8:9] offset:16
	s_mov_b64 s[16:17], exec
	v_mbcnt_lo_u32_b32 v2, s16, 0
	v_mbcnt_hi_u32_b32 v2, s17, v2
	v_cmp_eq_u32_e32 vcc, 0, v2
	s_and_saveexec_b64 s[14:15], vcc
	s_cbranch_execz .LBB3_467
; %bb.466:                              ;   in Loop: Header=BB3_3 Depth=1
	s_bcnt1_i32_b64 s16, s[16:17]
	v_mov_b32_e32 v53, s16
	s_waitcnt vmcnt(0)
	global_atomic_add_x2 v[0:1], v[53:54], off offset:8
.LBB3_467:                              ;   in Loop: Header=BB3_3 Depth=1
	s_or_b64 exec, exec, s[14:15]
	s_waitcnt vmcnt(0)
	global_load_dwordx2 v[2:3], v[0:1], off offset:16
	s_waitcnt vmcnt(0)
	v_cmp_eq_u64_e32 vcc, 0, v[2:3]
	s_cbranch_vccnz .LBB3_469
; %bb.468:                              ;   in Loop: Header=BB3_3 Depth=1
	global_load_dword v53, v[0:1], off offset:24
	s_waitcnt vmcnt(0)
	v_readfirstlane_b32 s14, v53
	s_and_b32 m0, s14, 0xffffff
	global_store_dwordx2 v[2:3], v[53:54], off
	s_sendmsg sendmsg(MSG_INTERRUPT)
.LBB3_469:                              ;   in Loop: Header=BB3_3 Depth=1
	s_or_b64 exec, exec, s[12:13]
	v_add_co_u32_e32 v0, vcc, v8, v26
	v_addc_co_u32_e32 v1, vcc, 0, v9, vcc
	s_branch .LBB3_473
.LBB3_470:                              ;   in Loop: Header=BB3_473 Depth=2
	s_or_b64 exec, exec, s[12:13]
	v_readfirstlane_b32 s12, v2
	s_cmp_eq_u32 s12, 0
	s_cbranch_scc1 .LBB3_472
; %bb.471:                              ;   in Loop: Header=BB3_473 Depth=2
	s_sleep 1
	s_cbranch_execnz .LBB3_473
	s_branch .LBB3_475
.LBB3_472:                              ;   in Loop: Header=BB3_3 Depth=1
	s_branch .LBB3_475
.LBB3_473:                              ;   Parent Loop BB3_3 Depth=1
                                        ; =>  This Inner Loop Header: Depth=2
	v_mov_b32_e32 v2, 1
	s_and_saveexec_b64 s[12:13], s[4:5]
	s_cbranch_execz .LBB3_470
; %bb.474:                              ;   in Loop: Header=BB3_473 Depth=2
	global_load_dword v2, v[4:5], off offset:20 glc
	s_waitcnt vmcnt(0)
	buffer_wbinvl1_vol
	v_and_b32_e32 v2, 1, v2
	s_branch .LBB3_470
.LBB3_475:                              ;   in Loop: Header=BB3_3 Depth=1
	global_load_dwordx2 v[0:1], v[0:1], off
	s_and_saveexec_b64 s[12:13], s[4:5]
	s_cbranch_execz .LBB3_479
; %bb.476:                              ;   in Loop: Header=BB3_3 Depth=1
	global_load_dwordx2 v[2:3], v54, s[8:9] offset:40
	global_load_dwordx2 v[10:11], v54, s[8:9] offset:24 glc
	global_load_dwordx2 v[4:5], v54, s[8:9]
	s_waitcnt vmcnt(2)
	v_readfirstlane_b32 s14, v2
	v_readfirstlane_b32 s15, v3
	s_add_u32 s16, s14, 1
	s_addc_u32 s17, s15, 0
	s_add_u32 s4, s16, s10
	s_addc_u32 s5, s17, s11
	s_cmp_eq_u64 s[4:5], 0
	s_cselect_b32 s5, s17, s5
	s_cselect_b32 s4, s16, s4
	s_and_b64 s[10:11], s[4:5], s[14:15]
	s_mul_i32 s11, s11, 24
	s_mul_hi_u32 s14, s10, 24
	s_mul_i32 s10, s10, 24
	s_add_i32 s11, s14, s11
	v_mov_b32_e32 v2, s11
	s_waitcnt vmcnt(0)
	v_add_co_u32_e32 v6, vcc, s10, v4
	v_addc_co_u32_e32 v7, vcc, v5, v2, vcc
	v_mov_b32_e32 v8, s4
	global_store_dwordx2 v[6:7], v[10:11], off
	v_mov_b32_e32 v9, s5
	s_waitcnt vmcnt(0)
	global_atomic_cmpswap_x2 v[4:5], v54, v[8:11], s[8:9] offset:24 glc
	s_waitcnt vmcnt(0)
	v_cmp_ne_u64_e32 vcc, v[4:5], v[10:11]
	s_and_b64 exec, exec, vcc
	s_cbranch_execz .LBB3_479
; %bb.477:                              ;   in Loop: Header=BB3_3 Depth=1
	s_mov_b64 s[10:11], 0
.LBB3_478:                              ;   Parent Loop BB3_3 Depth=1
                                        ; =>  This Inner Loop Header: Depth=2
	s_sleep 1
	global_store_dwordx2 v[6:7], v[4:5], off
	v_mov_b32_e32 v2, s4
	v_mov_b32_e32 v3, s5
	s_waitcnt vmcnt(0)
	global_atomic_cmpswap_x2 v[2:3], v54, v[2:5], s[8:9] offset:24 glc
	s_waitcnt vmcnt(0)
	v_cmp_eq_u64_e32 vcc, v[2:3], v[4:5]
	v_mov_b32_e32 v5, v3
	s_or_b64 s[10:11], vcc, s[10:11]
	v_mov_b32_e32 v4, v2
	s_andn2_b64 exec, exec, s[10:11]
	s_cbranch_execnz .LBB3_478
.LBB3_479:                              ;   in Loop: Header=BB3_3 Depth=1
	s_or_b64 exec, exec, s[12:13]
	v_readfirstlane_b32 s4, v47
	v_mov_b32_e32 v2, 0
	v_mov_b32_e32 v3, 0
	v_cmp_eq_u32_e64 s[4:5], s4, v47
	s_and_saveexec_b64 s[10:11], s[4:5]
	s_cbranch_execz .LBB3_485
; %bb.480:                              ;   in Loop: Header=BB3_3 Depth=1
	global_load_dwordx2 v[4:5], v54, s[8:9] offset:24 glc
	s_waitcnt vmcnt(0)
	buffer_wbinvl1_vol
	global_load_dwordx2 v[2:3], v54, s[8:9] offset:40
	global_load_dwordx2 v[6:7], v54, s[8:9]
	s_waitcnt vmcnt(1)
	v_and_b32_e32 v2, v2, v4
	v_and_b32_e32 v3, v3, v5
	v_mul_lo_u32 v3, v3, 24
	v_mul_hi_u32 v8, v2, 24
	v_mul_lo_u32 v2, v2, 24
	v_add_u32_e32 v3, v8, v3
	s_waitcnt vmcnt(0)
	v_add_co_u32_e32 v2, vcc, v6, v2
	v_addc_co_u32_e32 v3, vcc, v7, v3, vcc
	global_load_dwordx2 v[2:3], v[2:3], off glc
	s_waitcnt vmcnt(0)
	global_atomic_cmpswap_x2 v[2:3], v54, v[2:5], s[8:9] offset:24 glc
	s_waitcnt vmcnt(0)
	buffer_wbinvl1_vol
	v_cmp_ne_u64_e32 vcc, v[2:3], v[4:5]
	s_and_saveexec_b64 s[12:13], vcc
	s_cbranch_execz .LBB3_484
; %bb.481:                              ;   in Loop: Header=BB3_3 Depth=1
	s_mov_b64 s[14:15], 0
.LBB3_482:                              ;   Parent Loop BB3_3 Depth=1
                                        ; =>  This Inner Loop Header: Depth=2
	s_sleep 1
	global_load_dwordx2 v[6:7], v54, s[8:9] offset:40
	global_load_dwordx2 v[8:9], v54, s[8:9]
	v_mov_b32_e32 v5, v3
	v_mov_b32_e32 v4, v2
	s_waitcnt vmcnt(1)
	v_and_b32_e32 v2, v6, v4
	s_waitcnt vmcnt(0)
	v_mad_u64_u32 v[2:3], s[16:17], v2, 24, v[8:9]
	v_and_b32_e32 v6, v7, v5
	v_mad_u64_u32 v[6:7], s[16:17], v6, 24, v[3:4]
	v_mov_b32_e32 v3, v6
	global_load_dwordx2 v[2:3], v[2:3], off glc
	s_waitcnt vmcnt(0)
	global_atomic_cmpswap_x2 v[2:3], v54, v[2:5], s[8:9] offset:24 glc
	s_waitcnt vmcnt(0)
	buffer_wbinvl1_vol
	v_cmp_eq_u64_e32 vcc, v[2:3], v[4:5]
	s_or_b64 s[14:15], vcc, s[14:15]
	s_andn2_b64 exec, exec, s[14:15]
	s_cbranch_execnz .LBB3_482
; %bb.483:                              ;   in Loop: Header=BB3_3 Depth=1
	s_or_b64 exec, exec, s[14:15]
.LBB3_484:                              ;   in Loop: Header=BB3_3 Depth=1
	s_or_b64 exec, exec, s[12:13]
.LBB3_485:                              ;   in Loop: Header=BB3_3 Depth=1
	s_or_b64 exec, exec, s[10:11]
	global_load_dwordx2 v[8:9], v54, s[8:9] offset:40
	global_load_dwordx4 v[4:7], v54, s[8:9]
	v_readfirstlane_b32 s11, v3
	v_readfirstlane_b32 s10, v2
	s_mov_b64 s[14:15], exec
	s_waitcnt vmcnt(1)
	v_readfirstlane_b32 s12, v8
	v_readfirstlane_b32 s13, v9
	s_and_b64 s[12:13], s[12:13], s[10:11]
	s_mul_i32 s16, s13, 24
	s_mul_hi_u32 s17, s12, 24
	s_mul_i32 s20, s12, 24
	s_add_i32 s16, s17, s16
	v_mov_b32_e32 v2, s16
	s_waitcnt vmcnt(0)
	v_add_co_u32_e32 v8, vcc, s20, v4
	v_addc_co_u32_e32 v9, vcc, v5, v2, vcc
	s_and_saveexec_b64 s[16:17], s[4:5]
	s_cbranch_execz .LBB3_487
; %bb.486:                              ;   in Loop: Header=BB3_3 Depth=1
	v_mov_b32_e32 v38, s15
	v_mov_b32_e32 v37, s14
	global_store_dwordx4 v[8:9], v[37:40], off offset:8
.LBB3_487:                              ;   in Loop: Header=BB3_3 Depth=1
	s_or_b64 exec, exec, s[16:17]
	v_mul_lo_u32 v10, v27, v25
	s_lshl_b64 s[12:13], s[12:13], 12
	v_mov_b32_e32 v16, s13
	s_mov_b32 s41, s40
	v_cvt_f32_u32_e32 v2, v10
	s_mov_b32 s42, s40
	s_mov_b32 s43, s40
	v_and_or_b32 v0, v0, s48, 32
	v_rcp_iflag_f32_e32 v2, v2
	v_mul_f32_e32 v2, 0x4f7ffffe, v2
	v_cvt_u32_f32_e32 v11, v2
	v_sub_u32_e32 v2, 0, v10
	v_mul_lo_u32 v3, v2, v11
	v_mul_lo_u32 v2, v25, v25
	v_mul_hi_u32 v12, v11, v3
	v_mad_u64_u32 v[2:3], s[14:15], v27, v27, v[2:3]
	v_add_u32_e32 v3, v11, v12
	v_mul_hi_u32 v3, v2, v3
	v_mov_b32_e32 v12, s40
	v_mov_b32_e32 v13, s41
	;; [unrolled: 1-line block ×3, first 2 shown]
	v_mul_lo_u32 v11, v3, v10
	v_add_u32_e32 v17, 1, v3
	v_mov_b32_e32 v15, s43
	v_sub_u32_e32 v2, v2, v11
	v_cmp_ge_u32_e32 vcc, v2, v10
	v_sub_u32_e32 v11, v2, v10
	v_cndmask_b32_e32 v3, v3, v17, vcc
	v_cndmask_b32_e32 v2, v2, v11, vcc
	v_add_u32_e32 v11, 1, v3
	v_cmp_ge_u32_e32 vcc, v2, v10
	v_cndmask_b32_e32 v2, v3, v11, vcc
	v_cvt_f32_u32_e32 v2, v2
	v_add_co_u32_e32 v10, vcc, s12, v6
	v_addc_co_u32_e32 v11, vcc, v7, v16, vcc
	v_cvt_f64_f32_e32 v[2:3], v2
	v_readfirstlane_b32 s12, v10
	v_readfirstlane_b32 s13, v11
	s_nop 4
	global_store_dwordx4 v26, v[12:15], s[12:13] offset:16
	global_store_dwordx4 v26, v[12:15], s[12:13] offset:32
	global_store_dwordx4 v26, v[0:3], s[12:13]
	global_store_dwordx4 v26, v[12:15], s[12:13] offset:48
	s_and_saveexec_b64 s[12:13], s[4:5]
	s_cbranch_execz .LBB3_495
; %bb.488:                              ;   in Loop: Header=BB3_3 Depth=1
	global_load_dwordx2 v[14:15], v54, s[8:9] offset:32 glc
	global_load_dwordx2 v[0:1], v54, s[8:9] offset:40
	v_mov_b32_e32 v12, s10
	v_mov_b32_e32 v13, s11
	s_waitcnt vmcnt(0)
	v_readfirstlane_b32 s14, v0
	v_readfirstlane_b32 s15, v1
	s_and_b64 s[14:15], s[14:15], s[10:11]
	s_mul_i32 s15, s15, 24
	s_mul_hi_u32 s16, s14, 24
	s_mul_i32 s14, s14, 24
	s_add_i32 s15, s16, s15
	v_mov_b32_e32 v1, s15
	v_add_co_u32_e32 v0, vcc, s14, v4
	v_addc_co_u32_e32 v1, vcc, v5, v1, vcc
	global_store_dwordx2 v[0:1], v[14:15], off
	s_waitcnt vmcnt(0)
	global_atomic_cmpswap_x2 v[6:7], v54, v[12:15], s[8:9] offset:32 glc
	s_waitcnt vmcnt(0)
	v_cmp_ne_u64_e32 vcc, v[6:7], v[14:15]
	s_and_saveexec_b64 s[14:15], vcc
	s_cbranch_execz .LBB3_491
; %bb.489:                              ;   in Loop: Header=BB3_3 Depth=1
	s_mov_b64 s[16:17], 0
.LBB3_490:                              ;   Parent Loop BB3_3 Depth=1
                                        ; =>  This Inner Loop Header: Depth=2
	s_sleep 1
	global_store_dwordx2 v[0:1], v[6:7], off
	v_mov_b32_e32 v4, s10
	v_mov_b32_e32 v5, s11
	s_waitcnt vmcnt(0)
	global_atomic_cmpswap_x2 v[4:5], v54, v[4:7], s[8:9] offset:32 glc
	s_waitcnt vmcnt(0)
	v_cmp_eq_u64_e32 vcc, v[4:5], v[6:7]
	v_mov_b32_e32 v7, v5
	s_or_b64 s[16:17], vcc, s[16:17]
	v_mov_b32_e32 v6, v4
	s_andn2_b64 exec, exec, s[16:17]
	s_cbranch_execnz .LBB3_490
.LBB3_491:                              ;   in Loop: Header=BB3_3 Depth=1
	s_or_b64 exec, exec, s[14:15]
	global_load_dwordx2 v[0:1], v54, s[8:9] offset:16
	s_mov_b64 s[16:17], exec
	v_mbcnt_lo_u32_b32 v4, s16, 0
	v_mbcnt_hi_u32_b32 v4, s17, v4
	v_cmp_eq_u32_e32 vcc, 0, v4
	s_and_saveexec_b64 s[14:15], vcc
	s_cbranch_execz .LBB3_493
; %bb.492:                              ;   in Loop: Header=BB3_3 Depth=1
	s_bcnt1_i32_b64 s16, s[16:17]
	v_mov_b32_e32 v53, s16
	s_waitcnt vmcnt(0)
	global_atomic_add_x2 v[0:1], v[53:54], off offset:8
.LBB3_493:                              ;   in Loop: Header=BB3_3 Depth=1
	s_or_b64 exec, exec, s[14:15]
	s_waitcnt vmcnt(0)
	global_load_dwordx2 v[4:5], v[0:1], off offset:16
	s_waitcnt vmcnt(0)
	v_cmp_eq_u64_e32 vcc, 0, v[4:5]
	s_cbranch_vccnz .LBB3_495
; %bb.494:                              ;   in Loop: Header=BB3_3 Depth=1
	global_load_dword v53, v[0:1], off offset:24
	s_waitcnt vmcnt(0)
	v_readfirstlane_b32 s14, v53
	s_and_b32 m0, s14, 0xffffff
	global_store_dwordx2 v[4:5], v[53:54], off
	s_sendmsg sendmsg(MSG_INTERRUPT)
.LBB3_495:                              ;   in Loop: Header=BB3_3 Depth=1
	s_or_b64 exec, exec, s[12:13]
	v_add_co_u32_e32 v0, vcc, v10, v26
	v_addc_co_u32_e32 v1, vcc, 0, v11, vcc
	s_branch .LBB3_499
.LBB3_496:                              ;   in Loop: Header=BB3_499 Depth=2
	s_or_b64 exec, exec, s[12:13]
	v_readfirstlane_b32 s12, v4
	s_cmp_eq_u32 s12, 0
	s_cbranch_scc1 .LBB3_498
; %bb.497:                              ;   in Loop: Header=BB3_499 Depth=2
	s_sleep 1
	s_cbranch_execnz .LBB3_499
	s_branch .LBB3_501
.LBB3_498:                              ;   in Loop: Header=BB3_3 Depth=1
	s_branch .LBB3_501
.LBB3_499:                              ;   Parent Loop BB3_3 Depth=1
                                        ; =>  This Inner Loop Header: Depth=2
	v_mov_b32_e32 v4, 1
	s_and_saveexec_b64 s[12:13], s[4:5]
	s_cbranch_execz .LBB3_496
; %bb.500:                              ;   in Loop: Header=BB3_499 Depth=2
	global_load_dword v4, v[8:9], off offset:20 glc
	s_waitcnt vmcnt(0)
	buffer_wbinvl1_vol
	v_and_b32_e32 v4, 1, v4
	s_branch .LBB3_496
.LBB3_501:                              ;   in Loop: Header=BB3_3 Depth=1
	global_load_dwordx2 v[0:1], v[0:1], off
	s_and_saveexec_b64 s[12:13], s[4:5]
	s_cbranch_execz .LBB3_505
; %bb.502:                              ;   in Loop: Header=BB3_3 Depth=1
	global_load_dwordx2 v[4:5], v54, s[8:9] offset:40
	global_load_dwordx2 v[12:13], v54, s[8:9] offset:24 glc
	global_load_dwordx2 v[6:7], v54, s[8:9]
	s_waitcnt vmcnt(2)
	v_readfirstlane_b32 s14, v4
	v_readfirstlane_b32 s15, v5
	s_add_u32 s16, s14, 1
	s_addc_u32 s17, s15, 0
	s_add_u32 s4, s16, s10
	s_addc_u32 s5, s17, s11
	s_cmp_eq_u64 s[4:5], 0
	s_cselect_b32 s5, s17, s5
	s_cselect_b32 s4, s16, s4
	s_and_b64 s[10:11], s[4:5], s[14:15]
	s_mul_i32 s11, s11, 24
	s_mul_hi_u32 s14, s10, 24
	s_mul_i32 s10, s10, 24
	s_add_i32 s11, s14, s11
	v_mov_b32_e32 v4, s11
	s_waitcnt vmcnt(0)
	v_add_co_u32_e32 v8, vcc, s10, v6
	v_addc_co_u32_e32 v9, vcc, v7, v4, vcc
	v_mov_b32_e32 v10, s4
	global_store_dwordx2 v[8:9], v[12:13], off
	v_mov_b32_e32 v11, s5
	s_waitcnt vmcnt(0)
	global_atomic_cmpswap_x2 v[6:7], v54, v[10:13], s[8:9] offset:24 glc
	s_waitcnt vmcnt(0)
	v_cmp_ne_u64_e32 vcc, v[6:7], v[12:13]
	s_and_b64 exec, exec, vcc
	s_cbranch_execz .LBB3_505
; %bb.503:                              ;   in Loop: Header=BB3_3 Depth=1
	s_mov_b64 s[10:11], 0
.LBB3_504:                              ;   Parent Loop BB3_3 Depth=1
                                        ; =>  This Inner Loop Header: Depth=2
	s_sleep 1
	global_store_dwordx2 v[8:9], v[6:7], off
	v_mov_b32_e32 v4, s4
	v_mov_b32_e32 v5, s5
	s_waitcnt vmcnt(0)
	global_atomic_cmpswap_x2 v[4:5], v54, v[4:7], s[8:9] offset:24 glc
	s_waitcnt vmcnt(0)
	v_cmp_eq_u64_e32 vcc, v[4:5], v[6:7]
	v_mov_b32_e32 v7, v5
	s_or_b64 s[10:11], vcc, s[10:11]
	v_mov_b32_e32 v6, v4
	s_andn2_b64 exec, exec, s[10:11]
	s_cbranch_execnz .LBB3_504
.LBB3_505:                              ;   in Loop: Header=BB3_3 Depth=1
	s_or_b64 exec, exec, s[12:13]
	v_readfirstlane_b32 s4, v47
	v_mov_b32_e32 v8, 0
	v_mov_b32_e32 v9, 0
	v_cmp_eq_u32_e64 s[4:5], s4, v47
	s_and_saveexec_b64 s[10:11], s[4:5]
	s_cbranch_execz .LBB3_511
; %bb.506:                              ;   in Loop: Header=BB3_3 Depth=1
	global_load_dwordx2 v[6:7], v54, s[8:9] offset:24 glc
	s_waitcnt vmcnt(0)
	buffer_wbinvl1_vol
	global_load_dwordx2 v[4:5], v54, s[8:9] offset:40
	global_load_dwordx2 v[8:9], v54, s[8:9]
	s_waitcnt vmcnt(1)
	v_and_b32_e32 v4, v4, v6
	v_and_b32_e32 v5, v5, v7
	v_mul_lo_u32 v5, v5, 24
	v_mul_hi_u32 v10, v4, 24
	v_mul_lo_u32 v4, v4, 24
	v_add_u32_e32 v5, v10, v5
	s_waitcnt vmcnt(0)
	v_add_co_u32_e32 v4, vcc, v8, v4
	v_addc_co_u32_e32 v5, vcc, v9, v5, vcc
	global_load_dwordx2 v[4:5], v[4:5], off glc
	s_waitcnt vmcnt(0)
	global_atomic_cmpswap_x2 v[8:9], v54, v[4:7], s[8:9] offset:24 glc
	s_waitcnt vmcnt(0)
	buffer_wbinvl1_vol
	v_cmp_ne_u64_e32 vcc, v[8:9], v[6:7]
	s_and_saveexec_b64 s[12:13], vcc
	s_cbranch_execz .LBB3_510
; %bb.507:                              ;   in Loop: Header=BB3_3 Depth=1
	s_mov_b64 s[14:15], 0
.LBB3_508:                              ;   Parent Loop BB3_3 Depth=1
                                        ; =>  This Inner Loop Header: Depth=2
	s_sleep 1
	global_load_dwordx2 v[4:5], v54, s[8:9] offset:40
	global_load_dwordx2 v[10:11], v54, s[8:9]
	v_mov_b32_e32 v6, v8
	v_mov_b32_e32 v7, v9
	s_waitcnt vmcnt(1)
	v_and_b32_e32 v4, v4, v6
	s_waitcnt vmcnt(0)
	v_mad_u64_u32 v[8:9], s[16:17], v4, 24, v[10:11]
	v_and_b32_e32 v5, v5, v7
	v_mov_b32_e32 v4, v9
	v_mad_u64_u32 v[4:5], s[16:17], v5, 24, v[4:5]
	v_mov_b32_e32 v9, v4
	global_load_dwordx2 v[4:5], v[8:9], off glc
	s_waitcnt vmcnt(0)
	global_atomic_cmpswap_x2 v[8:9], v54, v[4:7], s[8:9] offset:24 glc
	s_waitcnt vmcnt(0)
	buffer_wbinvl1_vol
	v_cmp_eq_u64_e32 vcc, v[8:9], v[6:7]
	s_or_b64 s[14:15], vcc, s[14:15]
	s_andn2_b64 exec, exec, s[14:15]
	s_cbranch_execnz .LBB3_508
; %bb.509:                              ;   in Loop: Header=BB3_3 Depth=1
	s_or_b64 exec, exec, s[14:15]
.LBB3_510:                              ;   in Loop: Header=BB3_3 Depth=1
	s_or_b64 exec, exec, s[12:13]
.LBB3_511:                              ;   in Loop: Header=BB3_3 Depth=1
	s_or_b64 exec, exec, s[10:11]
	global_load_dwordx2 v[10:11], v54, s[8:9] offset:40
	global_load_dwordx4 v[4:7], v54, s[8:9]
	v_readfirstlane_b32 s11, v9
	v_readfirstlane_b32 s10, v8
	s_mov_b64 s[12:13], exec
	s_waitcnt vmcnt(1)
	v_readfirstlane_b32 s14, v10
	v_readfirstlane_b32 s15, v11
	s_and_b64 s[14:15], s[14:15], s[10:11]
	s_mul_i32 s16, s15, 24
	s_mul_hi_u32 s17, s14, 24
	s_mul_i32 s20, s14, 24
	s_add_i32 s16, s17, s16
	v_mov_b32_e32 v9, s16
	s_waitcnt vmcnt(0)
	v_add_co_u32_e32 v8, vcc, s20, v4
	v_addc_co_u32_e32 v9, vcc, v5, v9, vcc
	s_and_saveexec_b64 s[16:17], s[4:5]
	s_cbranch_execz .LBB3_513
; %bb.512:                              ;   in Loop: Header=BB3_3 Depth=1
	v_mov_b32_e32 v38, s13
	v_mov_b32_e32 v37, s12
	global_store_dwordx4 v[8:9], v[37:40], off offset:8
.LBB3_513:                              ;   in Loop: Header=BB3_3 Depth=1
	s_or_b64 exec, exec, s[16:17]
	s_lshl_b64 s[12:13], s[14:15], 12
	v_mov_b32_e32 v10, s13
	v_add_co_u32_e32 v6, vcc, s12, v6
	v_addc_co_u32_e32 v7, vcc, v7, v10, vcc
	v_and_or_b32 v0, v0, s49, 34
	v_readfirstlane_b32 s12, v6
	v_readfirstlane_b32 s13, v7
	s_mov_b32 s41, s40
	s_mov_b32 s42, s40
	;; [unrolled: 1-line block ×3, first 2 shown]
	s_nop 1
	global_store_dwordx4 v26, v[0:3], s[12:13]
	s_nop 0
	v_mov_b32_e32 v0, s40
	v_mov_b32_e32 v1, s41
	;; [unrolled: 1-line block ×4, first 2 shown]
	global_store_dwordx4 v26, v[0:3], s[12:13] offset:16
	global_store_dwordx4 v26, v[0:3], s[12:13] offset:32
	global_store_dwordx4 v26, v[0:3], s[12:13] offset:48
	s_and_saveexec_b64 s[12:13], s[4:5]
	s_cbranch_execz .LBB3_521
; %bb.514:                              ;   in Loop: Header=BB3_3 Depth=1
	global_load_dwordx2 v[12:13], v54, s[8:9] offset:32 glc
	global_load_dwordx2 v[0:1], v54, s[8:9] offset:40
	v_mov_b32_e32 v10, s10
	v_mov_b32_e32 v11, s11
	s_waitcnt vmcnt(0)
	v_readfirstlane_b32 s14, v0
	v_readfirstlane_b32 s15, v1
	s_and_b64 s[14:15], s[14:15], s[10:11]
	s_mul_i32 s15, s15, 24
	s_mul_hi_u32 s16, s14, 24
	s_mul_i32 s14, s14, 24
	s_add_i32 s15, s16, s15
	v_mov_b32_e32 v0, s15
	v_add_co_u32_e32 v4, vcc, s14, v4
	v_addc_co_u32_e32 v5, vcc, v5, v0, vcc
	global_store_dwordx2 v[4:5], v[12:13], off
	s_waitcnt vmcnt(0)
	global_atomic_cmpswap_x2 v[2:3], v54, v[10:13], s[8:9] offset:32 glc
	s_waitcnt vmcnt(0)
	v_cmp_ne_u64_e32 vcc, v[2:3], v[12:13]
	s_and_saveexec_b64 s[14:15], vcc
	s_cbranch_execz .LBB3_517
; %bb.515:                              ;   in Loop: Header=BB3_3 Depth=1
	s_mov_b64 s[16:17], 0
.LBB3_516:                              ;   Parent Loop BB3_3 Depth=1
                                        ; =>  This Inner Loop Header: Depth=2
	s_sleep 1
	global_store_dwordx2 v[4:5], v[2:3], off
	v_mov_b32_e32 v0, s10
	v_mov_b32_e32 v1, s11
	s_waitcnt vmcnt(0)
	global_atomic_cmpswap_x2 v[0:1], v54, v[0:3], s[8:9] offset:32 glc
	s_waitcnt vmcnt(0)
	v_cmp_eq_u64_e32 vcc, v[0:1], v[2:3]
	v_mov_b32_e32 v3, v1
	s_or_b64 s[16:17], vcc, s[16:17]
	v_mov_b32_e32 v2, v0
	s_andn2_b64 exec, exec, s[16:17]
	s_cbranch_execnz .LBB3_516
.LBB3_517:                              ;   in Loop: Header=BB3_3 Depth=1
	s_or_b64 exec, exec, s[14:15]
	global_load_dwordx2 v[0:1], v54, s[8:9] offset:16
	s_mov_b64 s[16:17], exec
	v_mbcnt_lo_u32_b32 v2, s16, 0
	v_mbcnt_hi_u32_b32 v2, s17, v2
	v_cmp_eq_u32_e32 vcc, 0, v2
	s_and_saveexec_b64 s[14:15], vcc
	s_cbranch_execz .LBB3_519
; %bb.518:                              ;   in Loop: Header=BB3_3 Depth=1
	s_bcnt1_i32_b64 s16, s[16:17]
	v_mov_b32_e32 v53, s16
	s_waitcnt vmcnt(0)
	global_atomic_add_x2 v[0:1], v[53:54], off offset:8
.LBB3_519:                              ;   in Loop: Header=BB3_3 Depth=1
	s_or_b64 exec, exec, s[14:15]
	s_waitcnt vmcnt(0)
	global_load_dwordx2 v[2:3], v[0:1], off offset:16
	s_waitcnt vmcnt(0)
	v_cmp_eq_u64_e32 vcc, 0, v[2:3]
	s_cbranch_vccnz .LBB3_521
; %bb.520:                              ;   in Loop: Header=BB3_3 Depth=1
	global_load_dword v53, v[0:1], off offset:24
	s_waitcnt vmcnt(0)
	v_readfirstlane_b32 s14, v53
	s_and_b32 m0, s14, 0xffffff
	global_store_dwordx2 v[2:3], v[53:54], off
	s_sendmsg sendmsg(MSG_INTERRUPT)
.LBB3_521:                              ;   in Loop: Header=BB3_3 Depth=1
	s_or_b64 exec, exec, s[12:13]
	v_add_co_u32_e32 v0, vcc, v6, v26
	v_addc_co_u32_e32 v1, vcc, 0, v7, vcc
	s_branch .LBB3_525
.LBB3_522:                              ;   in Loop: Header=BB3_525 Depth=2
	s_or_b64 exec, exec, s[12:13]
	v_readfirstlane_b32 s12, v2
	s_cmp_eq_u32 s12, 0
	s_cbranch_scc1 .LBB3_524
; %bb.523:                              ;   in Loop: Header=BB3_525 Depth=2
	s_sleep 1
	s_cbranch_execnz .LBB3_525
	s_branch .LBB3_527
.LBB3_524:                              ;   in Loop: Header=BB3_3 Depth=1
	s_branch .LBB3_527
.LBB3_525:                              ;   Parent Loop BB3_3 Depth=1
                                        ; =>  This Inner Loop Header: Depth=2
	v_mov_b32_e32 v2, 1
	s_and_saveexec_b64 s[12:13], s[4:5]
	s_cbranch_execz .LBB3_522
; %bb.526:                              ;   in Loop: Header=BB3_525 Depth=2
	global_load_dword v2, v[8:9], off offset:20 glc
	s_waitcnt vmcnt(0)
	buffer_wbinvl1_vol
	v_and_b32_e32 v2, 1, v2
	s_branch .LBB3_522
.LBB3_527:                              ;   in Loop: Header=BB3_3 Depth=1
	global_load_dwordx2 v[0:1], v[0:1], off
	s_and_saveexec_b64 s[12:13], s[4:5]
	s_cbranch_execz .LBB3_531
; %bb.528:                              ;   in Loop: Header=BB3_3 Depth=1
	global_load_dwordx2 v[1:2], v54, s[8:9] offset:40
	global_load_dwordx2 v[9:10], v54, s[8:9] offset:24 glc
	global_load_dwordx2 v[3:4], v54, s[8:9]
	s_waitcnt vmcnt(2)
	v_readfirstlane_b32 s14, v1
	v_readfirstlane_b32 s15, v2
	s_add_u32 s16, s14, 1
	s_addc_u32 s17, s15, 0
	s_add_u32 s4, s16, s10
	s_addc_u32 s5, s17, s11
	s_cmp_eq_u64 s[4:5], 0
	s_cselect_b32 s5, s17, s5
	s_cselect_b32 s4, s16, s4
	s_and_b64 s[10:11], s[4:5], s[14:15]
	s_mul_i32 s11, s11, 24
	s_mul_hi_u32 s14, s10, 24
	s_mul_i32 s10, s10, 24
	s_add_i32 s11, s14, s11
	v_mov_b32_e32 v1, s11
	s_waitcnt vmcnt(0)
	v_add_co_u32_e32 v5, vcc, s10, v3
	v_addc_co_u32_e32 v6, vcc, v4, v1, vcc
	v_mov_b32_e32 v7, s4
	global_store_dwordx2 v[5:6], v[9:10], off
	v_mov_b32_e32 v8, s5
	s_waitcnt vmcnt(0)
	global_atomic_cmpswap_x2 v[3:4], v54, v[7:10], s[8:9] offset:24 glc
	s_waitcnt vmcnt(0)
	v_cmp_ne_u64_e32 vcc, v[3:4], v[9:10]
	s_and_b64 exec, exec, vcc
	s_cbranch_execz .LBB3_531
; %bb.529:                              ;   in Loop: Header=BB3_3 Depth=1
	s_mov_b64 s[10:11], 0
.LBB3_530:                              ;   Parent Loop BB3_3 Depth=1
                                        ; =>  This Inner Loop Header: Depth=2
	s_sleep 1
	global_store_dwordx2 v[5:6], v[3:4], off
	v_mov_b32_e32 v1, s4
	v_mov_b32_e32 v2, s5
	s_waitcnt vmcnt(0)
	global_atomic_cmpswap_x2 v[1:2], v54, v[1:4], s[8:9] offset:24 glc
	s_waitcnt vmcnt(0)
	v_cmp_eq_u64_e32 vcc, v[1:2], v[3:4]
	v_mov_b32_e32 v4, v2
	s_or_b64 s[10:11], vcc, s[10:11]
	v_mov_b32_e32 v3, v1
	s_andn2_b64 exec, exec, s[10:11]
	s_cbranch_execnz .LBB3_530
.LBB3_531:                              ;   in Loop: Header=BB3_3 Depth=1
	s_or_b64 exec, exec, s[12:13]
.LBB3_532:                              ;   in Loop: Header=BB3_3 Depth=1
	s_or_b64 exec, exec, s[6:7]
                                        ; implicit-def: $vgpr25
.LBB3_533:                              ;   in Loop: Header=BB3_3 Depth=1
	s_andn2_saveexec_b64 s[6:7], s[18:19]
	s_cbranch_execz .LBB3_1553
; %bb.534:                              ;   in Loop: Header=BB3_3 Depth=1
	v_cmp_lt_i32_e32 vcc, 1, v46
                                        ; implicit-def: $vgpr0_vgpr1
	s_and_saveexec_b64 s[4:5], vcc
	s_xor_b64 s[8:9], exec, s[4:5]
	s_cbranch_execz .LBB3_913
; %bb.535:                              ;   in Loop: Header=BB3_3 Depth=1
	v_cmp_lt_i32_e32 vcc, 2, v46
                                        ; implicit-def: $vgpr0_vgpr1
	s_and_saveexec_b64 s[4:5], vcc
	s_xor_b64 s[10:11], exec, s[4:5]
	s_cbranch_execz .LBB3_889
; %bb.536:                              ;   in Loop: Header=BB3_3 Depth=1
	flat_load_dword v27, v[44:45]
	s_load_dwordx2 s[12:13], s[26:27], 0x50
	v_readfirstlane_b32 s4, v47
	v_mov_b32_e32 v4, 0
	v_mov_b32_e32 v5, 0
	v_cmp_eq_u32_e64 s[4:5], s4, v47
	s_and_saveexec_b64 s[14:15], s[4:5]
	s_cbranch_execz .LBB3_542
; %bb.537:                              ;   in Loop: Header=BB3_3 Depth=1
	s_waitcnt lgkmcnt(0)
	global_load_dwordx2 v[2:3], v54, s[12:13] offset:24 glc
	s_waitcnt vmcnt(0)
	buffer_wbinvl1_vol
	global_load_dwordx2 v[0:1], v54, s[12:13] offset:40
	global_load_dwordx2 v[4:5], v54, s[12:13]
	s_waitcnt vmcnt(1)
	v_and_b32_e32 v0, v0, v2
	v_and_b32_e32 v1, v1, v3
	v_mul_lo_u32 v1, v1, 24
	v_mul_hi_u32 v6, v0, 24
	v_mul_lo_u32 v0, v0, 24
	v_add_u32_e32 v1, v6, v1
	s_waitcnt vmcnt(0)
	v_add_co_u32_e32 v0, vcc, v4, v0
	v_addc_co_u32_e32 v1, vcc, v5, v1, vcc
	global_load_dwordx2 v[0:1], v[0:1], off glc
	s_waitcnt vmcnt(0)
	global_atomic_cmpswap_x2 v[4:5], v54, v[0:3], s[12:13] offset:24 glc
	s_waitcnt vmcnt(0)
	buffer_wbinvl1_vol
	v_cmp_ne_u64_e32 vcc, v[4:5], v[2:3]
	s_and_saveexec_b64 s[16:17], vcc
	s_cbranch_execz .LBB3_541
; %bb.538:                              ;   in Loop: Header=BB3_3 Depth=1
	s_mov_b64 s[18:19], 0
.LBB3_539:                              ;   Parent Loop BB3_3 Depth=1
                                        ; =>  This Inner Loop Header: Depth=2
	s_sleep 1
	global_load_dwordx2 v[0:1], v54, s[12:13] offset:40
	global_load_dwordx2 v[6:7], v54, s[12:13]
	v_mov_b32_e32 v2, v4
	v_mov_b32_e32 v3, v5
	s_waitcnt vmcnt(1)
	v_and_b32_e32 v0, v0, v2
	s_waitcnt vmcnt(0)
	v_mad_u64_u32 v[4:5], s[20:21], v0, 24, v[6:7]
	v_and_b32_e32 v1, v1, v3
	v_mov_b32_e32 v0, v5
	v_mad_u64_u32 v[0:1], s[20:21], v1, 24, v[0:1]
	v_mov_b32_e32 v5, v0
	global_load_dwordx2 v[0:1], v[4:5], off glc
	s_waitcnt vmcnt(0)
	global_atomic_cmpswap_x2 v[4:5], v54, v[0:3], s[12:13] offset:24 glc
	s_waitcnt vmcnt(0)
	buffer_wbinvl1_vol
	v_cmp_eq_u64_e32 vcc, v[4:5], v[2:3]
	s_or_b64 s[18:19], vcc, s[18:19]
	s_andn2_b64 exec, exec, s[18:19]
	s_cbranch_execnz .LBB3_539
; %bb.540:                              ;   in Loop: Header=BB3_3 Depth=1
	s_or_b64 exec, exec, s[18:19]
.LBB3_541:                              ;   in Loop: Header=BB3_3 Depth=1
	s_or_b64 exec, exec, s[16:17]
.LBB3_542:                              ;   in Loop: Header=BB3_3 Depth=1
	s_or_b64 exec, exec, s[14:15]
	s_waitcnt lgkmcnt(0)
	global_load_dwordx2 v[6:7], v54, s[12:13] offset:40
	global_load_dwordx4 v[0:3], v54, s[12:13]
	v_readfirstlane_b32 s15, v5
	v_readfirstlane_b32 s14, v4
	s_mov_b64 s[16:17], exec
	s_waitcnt vmcnt(0)
	v_readfirstlane_b32 s18, v6
	v_readfirstlane_b32 s19, v7
	s_and_b64 s[18:19], s[18:19], s[14:15]
	s_mul_i32 s20, s19, 24
	s_mul_hi_u32 s21, s18, 24
	s_mul_i32 s22, s18, 24
	s_add_i32 s20, s21, s20
	v_mov_b32_e32 v5, s20
	v_add_co_u32_e32 v4, vcc, s22, v0
	v_addc_co_u32_e32 v5, vcc, v1, v5, vcc
	s_and_saveexec_b64 s[20:21], s[4:5]
	s_cbranch_execz .LBB3_544
; %bb.543:                              ;   in Loop: Header=BB3_3 Depth=1
	v_mov_b32_e32 v38, s17
	v_mov_b32_e32 v37, s16
	global_store_dwordx4 v[4:5], v[37:40], off offset:8
.LBB3_544:                              ;   in Loop: Header=BB3_3 Depth=1
	s_or_b64 exec, exec, s[20:21]
	s_lshl_b64 s[16:17], s[18:19], 12
	v_mov_b32_e32 v6, s17
	v_add_co_u32_e32 v8, vcc, s16, v2
	v_addc_co_u32_e32 v9, vcc, v3, v6, vcc
	s_mov_b32 s41, s40
	s_mov_b32 s42, s40
	s_mov_b32 s43, s40
	v_mov_b32_e32 v10, s40
	v_lshlrev_b32_e32 v26, 6, v47
	v_mov_b32_e32 v53, v54
	v_mov_b32_e32 v55, v54
	v_readfirstlane_b32 s16, v8
	v_readfirstlane_b32 s17, v9
	v_mov_b32_e32 v11, s41
	v_mov_b32_e32 v12, s42
	;; [unrolled: 1-line block ×3, first 2 shown]
	s_nop 1
	global_store_dwordx4 v26, v[52:55], s[16:17]
	global_store_dwordx4 v26, v[10:13], s[16:17] offset:16
	global_store_dwordx4 v26, v[10:13], s[16:17] offset:32
	;; [unrolled: 1-line block ×3, first 2 shown]
	s_and_saveexec_b64 s[16:17], s[4:5]
	s_cbranch_execz .LBB3_552
; %bb.545:                              ;   in Loop: Header=BB3_3 Depth=1
	global_load_dwordx2 v[12:13], v54, s[12:13] offset:32 glc
	global_load_dwordx2 v[2:3], v54, s[12:13] offset:40
	v_mov_b32_e32 v10, s14
	v_mov_b32_e32 v11, s15
	s_waitcnt vmcnt(0)
	v_and_b32_e32 v2, s14, v2
	v_and_b32_e32 v3, s15, v3
	v_mul_lo_u32 v3, v3, 24
	v_mul_hi_u32 v6, v2, 24
	v_mul_lo_u32 v2, v2, 24
	v_add_u32_e32 v3, v6, v3
	v_add_co_u32_e32 v6, vcc, v0, v2
	v_addc_co_u32_e32 v7, vcc, v1, v3, vcc
	global_store_dwordx2 v[6:7], v[12:13], off
	s_waitcnt vmcnt(0)
	global_atomic_cmpswap_x2 v[2:3], v54, v[10:13], s[12:13] offset:32 glc
	s_waitcnt vmcnt(0)
	v_cmp_ne_u64_e32 vcc, v[2:3], v[12:13]
	s_and_saveexec_b64 s[18:19], vcc
	s_cbranch_execz .LBB3_548
; %bb.546:                              ;   in Loop: Header=BB3_3 Depth=1
	s_mov_b64 s[20:21], 0
.LBB3_547:                              ;   Parent Loop BB3_3 Depth=1
                                        ; =>  This Inner Loop Header: Depth=2
	s_sleep 1
	global_store_dwordx2 v[6:7], v[2:3], off
	v_mov_b32_e32 v0, s14
	v_mov_b32_e32 v1, s15
	s_waitcnt vmcnt(0)
	global_atomic_cmpswap_x2 v[0:1], v54, v[0:3], s[12:13] offset:32 glc
	s_waitcnt vmcnt(0)
	v_cmp_eq_u64_e32 vcc, v[0:1], v[2:3]
	v_mov_b32_e32 v3, v1
	s_or_b64 s[20:21], vcc, s[20:21]
	v_mov_b32_e32 v2, v0
	s_andn2_b64 exec, exec, s[20:21]
	s_cbranch_execnz .LBB3_547
.LBB3_548:                              ;   in Loop: Header=BB3_3 Depth=1
	s_or_b64 exec, exec, s[18:19]
	global_load_dwordx2 v[0:1], v54, s[12:13] offset:16
	s_mov_b64 s[20:21], exec
	v_mbcnt_lo_u32_b32 v2, s20, 0
	v_mbcnt_hi_u32_b32 v2, s21, v2
	v_cmp_eq_u32_e32 vcc, 0, v2
	s_and_saveexec_b64 s[18:19], vcc
	s_cbranch_execz .LBB3_550
; %bb.549:                              ;   in Loop: Header=BB3_3 Depth=1
	s_bcnt1_i32_b64 s20, s[20:21]
	v_mov_b32_e32 v53, s20
	s_waitcnt vmcnt(0)
	global_atomic_add_x2 v[0:1], v[53:54], off offset:8
.LBB3_550:                              ;   in Loop: Header=BB3_3 Depth=1
	s_or_b64 exec, exec, s[18:19]
	s_waitcnt vmcnt(0)
	global_load_dwordx2 v[2:3], v[0:1], off offset:16
	s_waitcnt vmcnt(0)
	v_cmp_eq_u64_e32 vcc, 0, v[2:3]
	s_cbranch_vccnz .LBB3_552
; %bb.551:                              ;   in Loop: Header=BB3_3 Depth=1
	global_load_dword v53, v[0:1], off offset:24
	s_waitcnt vmcnt(0)
	v_readfirstlane_b32 s18, v53
	s_and_b32 m0, s18, 0xffffff
	global_store_dwordx2 v[2:3], v[53:54], off
	s_sendmsg sendmsg(MSG_INTERRUPT)
.LBB3_552:                              ;   in Loop: Header=BB3_3 Depth=1
	s_or_b64 exec, exec, s[16:17]
	v_add_co_u32_e32 v0, vcc, v8, v26
	v_addc_co_u32_e32 v1, vcc, 0, v9, vcc
	s_branch .LBB3_556
.LBB3_553:                              ;   in Loop: Header=BB3_556 Depth=2
	s_or_b64 exec, exec, s[16:17]
	v_readfirstlane_b32 s16, v2
	s_cmp_eq_u32 s16, 0
	s_cbranch_scc1 .LBB3_555
; %bb.554:                              ;   in Loop: Header=BB3_556 Depth=2
	s_sleep 1
	s_cbranch_execnz .LBB3_556
	s_branch .LBB3_558
.LBB3_555:                              ;   in Loop: Header=BB3_3 Depth=1
	s_branch .LBB3_558
.LBB3_556:                              ;   Parent Loop BB3_3 Depth=1
                                        ; =>  This Inner Loop Header: Depth=2
	v_mov_b32_e32 v2, 1
	s_and_saveexec_b64 s[16:17], s[4:5]
	s_cbranch_execz .LBB3_553
; %bb.557:                              ;   in Loop: Header=BB3_556 Depth=2
	global_load_dword v2, v[4:5], off offset:20 glc
	s_waitcnt vmcnt(0)
	buffer_wbinvl1_vol
	v_and_b32_e32 v2, 1, v2
	s_branch .LBB3_553
.LBB3_558:                              ;   in Loop: Header=BB3_3 Depth=1
	global_load_dwordx2 v[0:1], v[0:1], off
	s_and_saveexec_b64 s[16:17], s[4:5]
	s_cbranch_execz .LBB3_562
; %bb.559:                              ;   in Loop: Header=BB3_3 Depth=1
	global_load_dwordx2 v[2:3], v54, s[12:13] offset:40
	global_load_dwordx2 v[10:11], v54, s[12:13] offset:24 glc
	global_load_dwordx2 v[4:5], v54, s[12:13]
	s_waitcnt vmcnt(2)
	v_readfirstlane_b32 s18, v2
	v_readfirstlane_b32 s19, v3
	s_add_u32 s20, s18, 1
	s_addc_u32 s21, s19, 0
	s_add_u32 s4, s20, s14
	s_addc_u32 s5, s21, s15
	s_cmp_eq_u64 s[4:5], 0
	s_cselect_b32 s5, s21, s5
	s_cselect_b32 s4, s20, s4
	s_and_b64 s[14:15], s[4:5], s[18:19]
	s_mul_i32 s15, s15, 24
	s_mul_hi_u32 s18, s14, 24
	s_mul_i32 s14, s14, 24
	s_add_i32 s15, s18, s15
	v_mov_b32_e32 v2, s15
	s_waitcnt vmcnt(0)
	v_add_co_u32_e32 v6, vcc, s14, v4
	v_addc_co_u32_e32 v7, vcc, v5, v2, vcc
	v_mov_b32_e32 v8, s4
	global_store_dwordx2 v[6:7], v[10:11], off
	v_mov_b32_e32 v9, s5
	s_waitcnt vmcnt(0)
	global_atomic_cmpswap_x2 v[4:5], v54, v[8:11], s[12:13] offset:24 glc
	s_waitcnt vmcnt(0)
	v_cmp_ne_u64_e32 vcc, v[4:5], v[10:11]
	s_and_b64 exec, exec, vcc
	s_cbranch_execz .LBB3_562
; %bb.560:                              ;   in Loop: Header=BB3_3 Depth=1
	s_mov_b64 s[14:15], 0
.LBB3_561:                              ;   Parent Loop BB3_3 Depth=1
                                        ; =>  This Inner Loop Header: Depth=2
	s_sleep 1
	global_store_dwordx2 v[6:7], v[4:5], off
	v_mov_b32_e32 v2, s4
	v_mov_b32_e32 v3, s5
	s_waitcnt vmcnt(0)
	global_atomic_cmpswap_x2 v[2:3], v54, v[2:5], s[12:13] offset:24 glc
	s_waitcnt vmcnt(0)
	v_cmp_eq_u64_e32 vcc, v[2:3], v[4:5]
	v_mov_b32_e32 v5, v3
	s_or_b64 s[14:15], vcc, s[14:15]
	v_mov_b32_e32 v4, v2
	s_andn2_b64 exec, exec, s[14:15]
	s_cbranch_execnz .LBB3_561
.LBB3_562:                              ;   in Loop: Header=BB3_3 Depth=1
	s_or_b64 exec, exec, s[16:17]
	s_and_b64 vcc, exec, s[60:61]
	s_cbranch_vccz .LBB3_782
; %bb.563:                              ;   in Loop: Header=BB3_3 Depth=1
	s_waitcnt vmcnt(0)
	v_and_b32_e32 v28, 2, v0
	v_and_b32_e32 v2, -3, v0
	v_mov_b32_e32 v3, v1
	s_mov_b64 s[16:17], 34
	s_getpc_b64 s[14:15]
	s_add_u32 s14, s14, .str@rel32@lo+4
	s_addc_u32 s15, s15, .str@rel32@hi+12
	s_branch .LBB3_565
.LBB3_564:                              ;   in Loop: Header=BB3_565 Depth=2
	s_or_b64 exec, exec, s[22:23]
	s_sub_u32 s16, s16, s18
	s_subb_u32 s17, s17, s19
	s_add_u32 s14, s14, s18
	s_addc_u32 s15, s15, s19
	s_cmp_lg_u64 s[16:17], 0
	s_cbranch_scc0 .LBB3_648
.LBB3_565:                              ;   Parent Loop BB3_3 Depth=1
                                        ; =>  This Loop Header: Depth=2
                                        ;       Child Loop BB3_568 Depth 3
                                        ;       Child Loop BB3_576 Depth 3
                                        ;       Child Loop BB3_584 Depth 3
                                        ;       Child Loop BB3_592 Depth 3
                                        ;       Child Loop BB3_600 Depth 3
                                        ;       Child Loop BB3_608 Depth 3
                                        ;       Child Loop BB3_616 Depth 3
                                        ;       Child Loop BB3_624 Depth 3
                                        ;       Child Loop BB3_632 Depth 3
                                        ;       Child Loop BB3_641 Depth 3
                                        ;       Child Loop BB3_646 Depth 3
	v_cmp_lt_u64_e64 s[4:5], s[16:17], 56
	v_cmp_gt_u64_e64 s[20:21], s[16:17], 7
	s_and_b64 s[4:5], s[4:5], exec
	s_cselect_b32 s19, s17, 0
	s_cselect_b32 s18, s16, 56
	s_add_u32 s4, s14, 8
	s_addc_u32 s5, s15, 0
	s_and_b64 vcc, exec, s[20:21]
	s_cbranch_vccnz .LBB3_569
; %bb.566:                              ;   in Loop: Header=BB3_565 Depth=2
	s_cmp_eq_u64 s[16:17], 0
	s_cbranch_scc1 .LBB3_570
; %bb.567:                              ;   in Loop: Header=BB3_565 Depth=2
	v_mov_b32_e32 v4, 0
	s_lshl_b64 s[4:5], s[18:19], 3
	s_mov_b64 s[20:21], 0
	v_mov_b32_e32 v5, 0
	s_mov_b64 s[22:23], s[14:15]
.LBB3_568:                              ;   Parent Loop BB3_3 Depth=1
                                        ;     Parent Loop BB3_565 Depth=2
                                        ; =>    This Inner Loop Header: Depth=3
	global_load_ubyte v6, v54, s[22:23]
	s_waitcnt vmcnt(0)
	v_and_b32_e32 v53, 0xffff, v6
	v_lshlrev_b64 v[6:7], s20, v[53:54]
	s_add_u32 s20, s20, 8
	s_addc_u32 s21, s21, 0
	s_add_u32 s22, s22, 1
	s_addc_u32 s23, s23, 0
	v_or_b32_e32 v4, v6, v4
	s_cmp_lg_u32 s4, s20
	v_or_b32_e32 v5, v7, v5
	s_cbranch_scc1 .LBB3_568
	s_branch .LBB3_571
.LBB3_569:                              ;   in Loop: Header=BB3_565 Depth=2
	s_mov_b32 s24, 0
	s_branch .LBB3_572
.LBB3_570:                              ;   in Loop: Header=BB3_565 Depth=2
	v_mov_b32_e32 v4, 0
	v_mov_b32_e32 v5, 0
.LBB3_571:                              ;   in Loop: Header=BB3_565 Depth=2
	s_mov_b64 s[4:5], s[14:15]
	s_mov_b32 s24, 0
	s_cbranch_execnz .LBB3_573
.LBB3_572:                              ;   in Loop: Header=BB3_565 Depth=2
	global_load_dwordx2 v[4:5], v54, s[14:15]
	s_add_i32 s24, s18, -8
.LBB3_573:                              ;   in Loop: Header=BB3_565 Depth=2
	s_add_u32 s20, s4, 8
	s_addc_u32 s21, s5, 0
	s_cmp_gt_u32 s24, 7
	s_cbranch_scc1 .LBB3_577
; %bb.574:                              ;   in Loop: Header=BB3_565 Depth=2
	s_cmp_eq_u32 s24, 0
	s_cbranch_scc1 .LBB3_578
; %bb.575:                              ;   in Loop: Header=BB3_565 Depth=2
	v_mov_b32_e32 v6, 0
	s_mov_b64 s[20:21], 0
	v_mov_b32_e32 v7, 0
	s_mov_b64 s[22:23], 0
.LBB3_576:                              ;   Parent Loop BB3_3 Depth=1
                                        ;     Parent Loop BB3_565 Depth=2
                                        ; =>    This Inner Loop Header: Depth=3
	s_add_u32 s42, s4, s22
	s_addc_u32 s43, s5, s23
	global_load_ubyte v8, v54, s[42:43]
	s_add_u32 s22, s22, 1
	s_addc_u32 s23, s23, 0
	s_waitcnt vmcnt(0)
	v_and_b32_e32 v53, 0xffff, v8
	v_lshlrev_b64 v[8:9], s20, v[53:54]
	s_add_u32 s20, s20, 8
	s_addc_u32 s21, s21, 0
	v_or_b32_e32 v6, v8, v6
	s_cmp_lg_u32 s24, s22
	v_or_b32_e32 v7, v9, v7
	s_cbranch_scc1 .LBB3_576
	s_branch .LBB3_579
.LBB3_577:                              ;   in Loop: Header=BB3_565 Depth=2
                                        ; implicit-def: $vgpr6_vgpr7
	s_mov_b32 s25, 0
	s_branch .LBB3_580
.LBB3_578:                              ;   in Loop: Header=BB3_565 Depth=2
	v_mov_b32_e32 v6, 0
	v_mov_b32_e32 v7, 0
.LBB3_579:                              ;   in Loop: Header=BB3_565 Depth=2
	s_mov_b64 s[20:21], s[4:5]
	s_mov_b32 s25, 0
	s_cbranch_execnz .LBB3_581
.LBB3_580:                              ;   in Loop: Header=BB3_565 Depth=2
	global_load_dwordx2 v[6:7], v54, s[4:5]
	s_add_i32 s25, s24, -8
.LBB3_581:                              ;   in Loop: Header=BB3_565 Depth=2
	s_add_u32 s4, s20, 8
	s_addc_u32 s5, s21, 0
	s_cmp_gt_u32 s25, 7
	s_cbranch_scc1 .LBB3_585
; %bb.582:                              ;   in Loop: Header=BB3_565 Depth=2
	s_cmp_eq_u32 s25, 0
	s_cbranch_scc1 .LBB3_586
; %bb.583:                              ;   in Loop: Header=BB3_565 Depth=2
	v_mov_b32_e32 v8, 0
	s_mov_b64 s[4:5], 0
	v_mov_b32_e32 v9, 0
	s_mov_b64 s[22:23], 0
.LBB3_584:                              ;   Parent Loop BB3_3 Depth=1
                                        ;     Parent Loop BB3_565 Depth=2
                                        ; =>    This Inner Loop Header: Depth=3
	s_add_u32 s42, s20, s22
	s_addc_u32 s43, s21, s23
	global_load_ubyte v10, v54, s[42:43]
	s_add_u32 s22, s22, 1
	s_addc_u32 s23, s23, 0
	s_waitcnt vmcnt(0)
	v_and_b32_e32 v53, 0xffff, v10
	v_lshlrev_b64 v[10:11], s4, v[53:54]
	s_add_u32 s4, s4, 8
	s_addc_u32 s5, s5, 0
	v_or_b32_e32 v8, v10, v8
	s_cmp_lg_u32 s25, s22
	v_or_b32_e32 v9, v11, v9
	s_cbranch_scc1 .LBB3_584
	s_branch .LBB3_587
.LBB3_585:                              ;   in Loop: Header=BB3_565 Depth=2
	s_mov_b32 s24, 0
	s_branch .LBB3_588
.LBB3_586:                              ;   in Loop: Header=BB3_565 Depth=2
	v_mov_b32_e32 v8, 0
	v_mov_b32_e32 v9, 0
.LBB3_587:                              ;   in Loop: Header=BB3_565 Depth=2
	s_mov_b64 s[4:5], s[20:21]
	s_mov_b32 s24, 0
	s_cbranch_execnz .LBB3_589
.LBB3_588:                              ;   in Loop: Header=BB3_565 Depth=2
	global_load_dwordx2 v[8:9], v54, s[20:21]
	s_add_i32 s24, s25, -8
.LBB3_589:                              ;   in Loop: Header=BB3_565 Depth=2
	s_add_u32 s20, s4, 8
	s_addc_u32 s21, s5, 0
	s_cmp_gt_u32 s24, 7
	s_cbranch_scc1 .LBB3_593
; %bb.590:                              ;   in Loop: Header=BB3_565 Depth=2
	s_cmp_eq_u32 s24, 0
	s_cbranch_scc1 .LBB3_594
; %bb.591:                              ;   in Loop: Header=BB3_565 Depth=2
	v_mov_b32_e32 v10, 0
	s_mov_b64 s[20:21], 0
	v_mov_b32_e32 v11, 0
	s_mov_b64 s[22:23], 0
.LBB3_592:                              ;   Parent Loop BB3_3 Depth=1
                                        ;     Parent Loop BB3_565 Depth=2
                                        ; =>    This Inner Loop Header: Depth=3
	s_add_u32 s42, s4, s22
	s_addc_u32 s43, s5, s23
	global_load_ubyte v12, v54, s[42:43]
	s_add_u32 s22, s22, 1
	s_addc_u32 s23, s23, 0
	s_waitcnt vmcnt(0)
	v_and_b32_e32 v53, 0xffff, v12
	v_lshlrev_b64 v[12:13], s20, v[53:54]
	s_add_u32 s20, s20, 8
	s_addc_u32 s21, s21, 0
	v_or_b32_e32 v10, v12, v10
	s_cmp_lg_u32 s24, s22
	v_or_b32_e32 v11, v13, v11
	s_cbranch_scc1 .LBB3_592
	s_branch .LBB3_595
.LBB3_593:                              ;   in Loop: Header=BB3_565 Depth=2
                                        ; implicit-def: $vgpr10_vgpr11
	s_mov_b32 s25, 0
	s_branch .LBB3_596
.LBB3_594:                              ;   in Loop: Header=BB3_565 Depth=2
	v_mov_b32_e32 v10, 0
	v_mov_b32_e32 v11, 0
.LBB3_595:                              ;   in Loop: Header=BB3_565 Depth=2
	s_mov_b64 s[20:21], s[4:5]
	s_mov_b32 s25, 0
	s_cbranch_execnz .LBB3_597
.LBB3_596:                              ;   in Loop: Header=BB3_565 Depth=2
	global_load_dwordx2 v[10:11], v54, s[4:5]
	s_add_i32 s25, s24, -8
.LBB3_597:                              ;   in Loop: Header=BB3_565 Depth=2
	s_add_u32 s4, s20, 8
	s_addc_u32 s5, s21, 0
	s_cmp_gt_u32 s25, 7
	s_cbranch_scc1 .LBB3_601
; %bb.598:                              ;   in Loop: Header=BB3_565 Depth=2
	s_cmp_eq_u32 s25, 0
	s_cbranch_scc1 .LBB3_602
; %bb.599:                              ;   in Loop: Header=BB3_565 Depth=2
	v_mov_b32_e32 v12, 0
	s_mov_b64 s[4:5], 0
	v_mov_b32_e32 v13, 0
	s_mov_b64 s[22:23], 0
.LBB3_600:                              ;   Parent Loop BB3_3 Depth=1
                                        ;     Parent Loop BB3_565 Depth=2
                                        ; =>    This Inner Loop Header: Depth=3
	s_add_u32 s42, s20, s22
	s_addc_u32 s43, s21, s23
	global_load_ubyte v14, v54, s[42:43]
	s_add_u32 s22, s22, 1
	s_addc_u32 s23, s23, 0
	s_waitcnt vmcnt(0)
	v_and_b32_e32 v53, 0xffff, v14
	v_lshlrev_b64 v[14:15], s4, v[53:54]
	s_add_u32 s4, s4, 8
	s_addc_u32 s5, s5, 0
	v_or_b32_e32 v12, v14, v12
	s_cmp_lg_u32 s25, s22
	v_or_b32_e32 v13, v15, v13
	s_cbranch_scc1 .LBB3_600
	s_branch .LBB3_603
.LBB3_601:                              ;   in Loop: Header=BB3_565 Depth=2
	s_mov_b32 s24, 0
	s_branch .LBB3_604
.LBB3_602:                              ;   in Loop: Header=BB3_565 Depth=2
	v_mov_b32_e32 v12, 0
	v_mov_b32_e32 v13, 0
.LBB3_603:                              ;   in Loop: Header=BB3_565 Depth=2
	s_mov_b64 s[4:5], s[20:21]
	s_mov_b32 s24, 0
	s_cbranch_execnz .LBB3_605
.LBB3_604:                              ;   in Loop: Header=BB3_565 Depth=2
	global_load_dwordx2 v[12:13], v54, s[20:21]
	s_add_i32 s24, s25, -8
.LBB3_605:                              ;   in Loop: Header=BB3_565 Depth=2
	s_add_u32 s20, s4, 8
	s_addc_u32 s21, s5, 0
	s_cmp_gt_u32 s24, 7
	s_cbranch_scc1 .LBB3_609
; %bb.606:                              ;   in Loop: Header=BB3_565 Depth=2
	s_cmp_eq_u32 s24, 0
	s_cbranch_scc1 .LBB3_610
; %bb.607:                              ;   in Loop: Header=BB3_565 Depth=2
	v_mov_b32_e32 v14, 0
	s_mov_b64 s[20:21], 0
	v_mov_b32_e32 v15, 0
	s_mov_b64 s[22:23], 0
.LBB3_608:                              ;   Parent Loop BB3_3 Depth=1
                                        ;     Parent Loop BB3_565 Depth=2
                                        ; =>    This Inner Loop Header: Depth=3
	s_add_u32 s42, s4, s22
	s_addc_u32 s43, s5, s23
	global_load_ubyte v16, v54, s[42:43]
	s_add_u32 s22, s22, 1
	s_addc_u32 s23, s23, 0
	s_waitcnt vmcnt(0)
	v_and_b32_e32 v53, 0xffff, v16
	v_lshlrev_b64 v[16:17], s20, v[53:54]
	s_add_u32 s20, s20, 8
	s_addc_u32 s21, s21, 0
	v_or_b32_e32 v14, v16, v14
	s_cmp_lg_u32 s24, s22
	v_or_b32_e32 v15, v17, v15
	s_cbranch_scc1 .LBB3_608
	s_branch .LBB3_611
.LBB3_609:                              ;   in Loop: Header=BB3_565 Depth=2
                                        ; implicit-def: $vgpr14_vgpr15
	s_mov_b32 s25, 0
	s_branch .LBB3_612
.LBB3_610:                              ;   in Loop: Header=BB3_565 Depth=2
	v_mov_b32_e32 v14, 0
	v_mov_b32_e32 v15, 0
.LBB3_611:                              ;   in Loop: Header=BB3_565 Depth=2
	s_mov_b64 s[20:21], s[4:5]
	s_mov_b32 s25, 0
	s_cbranch_execnz .LBB3_613
.LBB3_612:                              ;   in Loop: Header=BB3_565 Depth=2
	global_load_dwordx2 v[14:15], v54, s[4:5]
	s_add_i32 s25, s24, -8
.LBB3_613:                              ;   in Loop: Header=BB3_565 Depth=2
	s_cmp_gt_u32 s25, 7
	s_cbranch_scc1 .LBB3_617
; %bb.614:                              ;   in Loop: Header=BB3_565 Depth=2
	s_cmp_eq_u32 s25, 0
	s_cbranch_scc1 .LBB3_618
; %bb.615:                              ;   in Loop: Header=BB3_565 Depth=2
	v_mov_b32_e32 v16, 0
	s_mov_b64 s[4:5], 0
	v_mov_b32_e32 v17, 0
	s_mov_b64 s[22:23], s[20:21]
.LBB3_616:                              ;   Parent Loop BB3_3 Depth=1
                                        ;     Parent Loop BB3_565 Depth=2
                                        ; =>    This Inner Loop Header: Depth=3
	global_load_ubyte v18, v54, s[22:23]
	s_add_i32 s25, s25, -1
	s_waitcnt vmcnt(0)
	v_and_b32_e32 v53, 0xffff, v18
	v_lshlrev_b64 v[18:19], s4, v[53:54]
	s_add_u32 s4, s4, 8
	s_addc_u32 s5, s5, 0
	s_add_u32 s22, s22, 1
	s_addc_u32 s23, s23, 0
	v_or_b32_e32 v16, v18, v16
	s_cmp_lg_u32 s25, 0
	v_or_b32_e32 v17, v19, v17
	s_cbranch_scc1 .LBB3_616
	s_branch .LBB3_619
.LBB3_617:                              ;   in Loop: Header=BB3_565 Depth=2
	s_branch .LBB3_620
.LBB3_618:                              ;   in Loop: Header=BB3_565 Depth=2
	v_mov_b32_e32 v16, 0
	v_mov_b32_e32 v17, 0
.LBB3_619:                              ;   in Loop: Header=BB3_565 Depth=2
	s_cbranch_execnz .LBB3_621
.LBB3_620:                              ;   in Loop: Header=BB3_565 Depth=2
	global_load_dwordx2 v[16:17], v54, s[20:21]
.LBB3_621:                              ;   in Loop: Header=BB3_565 Depth=2
	v_readfirstlane_b32 s4, v47
	v_mov_b32_e32 v22, 0
	v_mov_b32_e32 v23, 0
	v_cmp_eq_u32_e64 s[4:5], s4, v47
	s_and_saveexec_b64 s[20:21], s[4:5]
	s_cbranch_execz .LBB3_627
; %bb.622:                              ;   in Loop: Header=BB3_565 Depth=2
	global_load_dwordx2 v[20:21], v54, s[12:13] offset:24 glc
	s_waitcnt vmcnt(0)
	buffer_wbinvl1_vol
	global_load_dwordx2 v[18:19], v54, s[12:13] offset:40
	global_load_dwordx2 v[22:23], v54, s[12:13]
	s_waitcnt vmcnt(1)
	v_and_b32_e32 v18, v18, v20
	v_and_b32_e32 v19, v19, v21
	v_mul_lo_u32 v19, v19, 24
	v_mul_hi_u32 v29, v18, 24
	v_mul_lo_u32 v18, v18, 24
	v_add_u32_e32 v19, v29, v19
	s_waitcnt vmcnt(0)
	v_add_co_u32_e32 v18, vcc, v22, v18
	v_addc_co_u32_e32 v19, vcc, v23, v19, vcc
	global_load_dwordx2 v[18:19], v[18:19], off glc
	s_waitcnt vmcnt(0)
	global_atomic_cmpswap_x2 v[22:23], v54, v[18:21], s[12:13] offset:24 glc
	s_waitcnt vmcnt(0)
	buffer_wbinvl1_vol
	v_cmp_ne_u64_e32 vcc, v[22:23], v[20:21]
	s_and_saveexec_b64 s[22:23], vcc
	s_cbranch_execz .LBB3_626
; %bb.623:                              ;   in Loop: Header=BB3_565 Depth=2
	s_mov_b64 s[24:25], 0
.LBB3_624:                              ;   Parent Loop BB3_3 Depth=1
                                        ;     Parent Loop BB3_565 Depth=2
                                        ; =>    This Inner Loop Header: Depth=3
	s_sleep 1
	global_load_dwordx2 v[18:19], v54, s[12:13] offset:40
	global_load_dwordx2 v[29:30], v54, s[12:13]
	v_mov_b32_e32 v20, v22
	v_mov_b32_e32 v21, v23
	s_waitcnt vmcnt(1)
	v_and_b32_e32 v18, v18, v20
	s_waitcnt vmcnt(0)
	v_mad_u64_u32 v[22:23], s[42:43], v18, 24, v[29:30]
	v_and_b32_e32 v19, v19, v21
	v_mov_b32_e32 v18, v23
	v_mad_u64_u32 v[18:19], s[42:43], v19, 24, v[18:19]
	v_mov_b32_e32 v23, v18
	global_load_dwordx2 v[18:19], v[22:23], off glc
	s_waitcnt vmcnt(0)
	global_atomic_cmpswap_x2 v[22:23], v54, v[18:21], s[12:13] offset:24 glc
	s_waitcnt vmcnt(0)
	buffer_wbinvl1_vol
	v_cmp_eq_u64_e32 vcc, v[22:23], v[20:21]
	s_or_b64 s[24:25], vcc, s[24:25]
	s_andn2_b64 exec, exec, s[24:25]
	s_cbranch_execnz .LBB3_624
; %bb.625:                              ;   in Loop: Header=BB3_565 Depth=2
	s_or_b64 exec, exec, s[24:25]
.LBB3_626:                              ;   in Loop: Header=BB3_565 Depth=2
	s_or_b64 exec, exec, s[22:23]
.LBB3_627:                              ;   in Loop: Header=BB3_565 Depth=2
	s_or_b64 exec, exec, s[20:21]
	global_load_dwordx2 v[29:30], v54, s[12:13] offset:40
	global_load_dwordx4 v[18:21], v54, s[12:13]
	v_readfirstlane_b32 s21, v23
	v_readfirstlane_b32 s20, v22
	s_mov_b64 s[22:23], exec
	s_waitcnt vmcnt(1)
	v_readfirstlane_b32 s24, v29
	v_readfirstlane_b32 s25, v30
	s_and_b64 s[24:25], s[24:25], s[20:21]
	s_mul_i32 s41, s25, 24
	s_mul_hi_u32 s42, s24, 24
	s_mul_i32 s43, s24, 24
	s_add_i32 s41, s42, s41
	v_mov_b32_e32 v23, s41
	s_waitcnt vmcnt(0)
	v_add_co_u32_e32 v22, vcc, s43, v18
	v_addc_co_u32_e32 v23, vcc, v19, v23, vcc
	s_and_saveexec_b64 s[42:43], s[4:5]
	s_cbranch_execz .LBB3_629
; %bb.628:                              ;   in Loop: Header=BB3_565 Depth=2
	v_mov_b32_e32 v38, s23
	v_mov_b32_e32 v37, s22
	global_store_dwordx4 v[22:23], v[37:40], off offset:8
.LBB3_629:                              ;   in Loop: Header=BB3_565 Depth=2
	s_or_b64 exec, exec, s[42:43]
	s_lshl_b64 s[22:23], s[24:25], 12
	v_mov_b32_e32 v29, s23
	v_add_co_u32_e32 v20, vcc, s22, v20
	v_addc_co_u32_e32 v21, vcc, v21, v29, vcc
	v_cmp_lt_u64_e64 vcc, s[16:17], 57
	s_lshl_b32 s22, s18, 2
	v_cndmask_b32_e32 v29, 0, v28, vcc
	s_add_i32 s22, s22, 28
	v_and_b32_e32 v2, 0xffffff1f, v2
	s_and_b32 s22, s22, 0x1e0
	v_or_b32_e32 v2, v2, v29
	v_or_b32_e32 v2, s22, v2
	v_readfirstlane_b32 s22, v20
	v_readfirstlane_b32 s23, v21
	s_nop 4
	global_store_dwordx4 v26, v[2:5], s[22:23]
	global_store_dwordx4 v26, v[6:9], s[22:23] offset:16
	global_store_dwordx4 v26, v[10:13], s[22:23] offset:32
	;; [unrolled: 1-line block ×3, first 2 shown]
	s_and_saveexec_b64 s[22:23], s[4:5]
	s_cbranch_execz .LBB3_637
; %bb.630:                              ;   in Loop: Header=BB3_565 Depth=2
	global_load_dwordx2 v[10:11], v54, s[12:13] offset:32 glc
	global_load_dwordx2 v[2:3], v54, s[12:13] offset:40
	v_mov_b32_e32 v8, s20
	v_mov_b32_e32 v9, s21
	s_waitcnt vmcnt(0)
	v_readfirstlane_b32 s24, v2
	v_readfirstlane_b32 s25, v3
	s_and_b64 s[24:25], s[24:25], s[20:21]
	s_mul_i32 s25, s25, 24
	s_mul_hi_u32 s41, s24, 24
	s_mul_i32 s24, s24, 24
	s_add_i32 s25, s41, s25
	v_mov_b32_e32 v2, s25
	v_add_co_u32_e32 v6, vcc, s24, v18
	v_addc_co_u32_e32 v7, vcc, v19, v2, vcc
	global_store_dwordx2 v[6:7], v[10:11], off
	s_waitcnt vmcnt(0)
	global_atomic_cmpswap_x2 v[4:5], v54, v[8:11], s[12:13] offset:32 glc
	s_waitcnt vmcnt(0)
	v_cmp_ne_u64_e32 vcc, v[4:5], v[10:11]
	s_and_saveexec_b64 s[24:25], vcc
	s_cbranch_execz .LBB3_633
; %bb.631:                              ;   in Loop: Header=BB3_565 Depth=2
	s_mov_b64 s[42:43], 0
.LBB3_632:                              ;   Parent Loop BB3_3 Depth=1
                                        ;     Parent Loop BB3_565 Depth=2
                                        ; =>    This Inner Loop Header: Depth=3
	s_sleep 1
	global_store_dwordx2 v[6:7], v[4:5], off
	v_mov_b32_e32 v2, s20
	v_mov_b32_e32 v3, s21
	s_waitcnt vmcnt(0)
	global_atomic_cmpswap_x2 v[2:3], v54, v[2:5], s[12:13] offset:32 glc
	s_waitcnt vmcnt(0)
	v_cmp_eq_u64_e32 vcc, v[2:3], v[4:5]
	v_mov_b32_e32 v5, v3
	s_or_b64 s[42:43], vcc, s[42:43]
	v_mov_b32_e32 v4, v2
	s_andn2_b64 exec, exec, s[42:43]
	s_cbranch_execnz .LBB3_632
.LBB3_633:                              ;   in Loop: Header=BB3_565 Depth=2
	s_or_b64 exec, exec, s[24:25]
	global_load_dwordx2 v[2:3], v54, s[12:13] offset:16
	s_mov_b64 s[42:43], exec
	v_mbcnt_lo_u32_b32 v4, s42, 0
	v_mbcnt_hi_u32_b32 v4, s43, v4
	v_cmp_eq_u32_e32 vcc, 0, v4
	s_and_saveexec_b64 s[24:25], vcc
	s_cbranch_execz .LBB3_635
; %bb.634:                              ;   in Loop: Header=BB3_565 Depth=2
	s_bcnt1_i32_b64 s41, s[42:43]
	v_mov_b32_e32 v53, s41
	s_waitcnt vmcnt(0)
	global_atomic_add_x2 v[2:3], v[53:54], off offset:8
.LBB3_635:                              ;   in Loop: Header=BB3_565 Depth=2
	s_or_b64 exec, exec, s[24:25]
	s_waitcnt vmcnt(0)
	global_load_dwordx2 v[4:5], v[2:3], off offset:16
	s_waitcnt vmcnt(0)
	v_cmp_eq_u64_e32 vcc, 0, v[4:5]
	s_cbranch_vccnz .LBB3_637
; %bb.636:                              ;   in Loop: Header=BB3_565 Depth=2
	global_load_dword v53, v[2:3], off offset:24
	s_waitcnt vmcnt(0)
	v_readfirstlane_b32 s24, v53
	s_and_b32 m0, s24, 0xffffff
	global_store_dwordx2 v[4:5], v[53:54], off
	s_sendmsg sendmsg(MSG_INTERRUPT)
.LBB3_637:                              ;   in Loop: Header=BB3_565 Depth=2
	s_or_b64 exec, exec, s[22:23]
	v_add_co_u32_e32 v2, vcc, v20, v26
	v_addc_co_u32_e32 v3, vcc, 0, v21, vcc
	s_branch .LBB3_641
.LBB3_638:                              ;   in Loop: Header=BB3_641 Depth=3
	s_or_b64 exec, exec, s[22:23]
	v_readfirstlane_b32 s22, v4
	s_cmp_eq_u32 s22, 0
	s_cbranch_scc1 .LBB3_640
; %bb.639:                              ;   in Loop: Header=BB3_641 Depth=3
	s_sleep 1
	s_cbranch_execnz .LBB3_641
	s_branch .LBB3_643
.LBB3_640:                              ;   in Loop: Header=BB3_565 Depth=2
	s_branch .LBB3_643
.LBB3_641:                              ;   Parent Loop BB3_3 Depth=1
                                        ;     Parent Loop BB3_565 Depth=2
                                        ; =>    This Inner Loop Header: Depth=3
	v_mov_b32_e32 v4, 1
	s_and_saveexec_b64 s[22:23], s[4:5]
	s_cbranch_execz .LBB3_638
; %bb.642:                              ;   in Loop: Header=BB3_641 Depth=3
	global_load_dword v4, v[22:23], off offset:20 glc
	s_waitcnt vmcnt(0)
	buffer_wbinvl1_vol
	v_and_b32_e32 v4, 1, v4
	s_branch .LBB3_638
.LBB3_643:                              ;   in Loop: Header=BB3_565 Depth=2
	global_load_dwordx2 v[2:3], v[2:3], off
	s_and_saveexec_b64 s[22:23], s[4:5]
	s_cbranch_execz .LBB3_564
; %bb.644:                              ;   in Loop: Header=BB3_565 Depth=2
	global_load_dwordx2 v[4:5], v54, s[12:13] offset:40
	global_load_dwordx2 v[12:13], v54, s[12:13] offset:24 glc
	global_load_dwordx2 v[6:7], v54, s[12:13]
	s_waitcnt vmcnt(2)
	v_readfirstlane_b32 s24, v4
	v_readfirstlane_b32 s25, v5
	s_add_u32 s41, s24, 1
	s_addc_u32 s42, s25, 0
	s_add_u32 s4, s41, s20
	s_addc_u32 s5, s42, s21
	s_cmp_eq_u64 s[4:5], 0
	s_cselect_b32 s5, s42, s5
	s_cselect_b32 s4, s41, s4
	s_and_b64 s[20:21], s[4:5], s[24:25]
	s_mul_i32 s21, s21, 24
	s_mul_hi_u32 s24, s20, 24
	s_mul_i32 s20, s20, 24
	s_add_i32 s21, s24, s21
	v_mov_b32_e32 v4, s21
	s_waitcnt vmcnt(0)
	v_add_co_u32_e32 v8, vcc, s20, v6
	v_addc_co_u32_e32 v9, vcc, v7, v4, vcc
	v_mov_b32_e32 v10, s4
	global_store_dwordx2 v[8:9], v[12:13], off
	v_mov_b32_e32 v11, s5
	s_waitcnt vmcnt(0)
	global_atomic_cmpswap_x2 v[6:7], v54, v[10:13], s[12:13] offset:24 glc
	s_waitcnt vmcnt(0)
	v_cmp_ne_u64_e32 vcc, v[6:7], v[12:13]
	s_and_b64 exec, exec, vcc
	s_cbranch_execz .LBB3_564
; %bb.645:                              ;   in Loop: Header=BB3_565 Depth=2
	s_mov_b64 s[20:21], 0
.LBB3_646:                              ;   Parent Loop BB3_3 Depth=1
                                        ;     Parent Loop BB3_565 Depth=2
                                        ; =>    This Inner Loop Header: Depth=3
	s_sleep 1
	global_store_dwordx2 v[8:9], v[6:7], off
	v_mov_b32_e32 v4, s4
	v_mov_b32_e32 v5, s5
	s_waitcnt vmcnt(0)
	global_atomic_cmpswap_x2 v[4:5], v54, v[4:7], s[12:13] offset:24 glc
	s_waitcnt vmcnt(0)
	v_cmp_eq_u64_e32 vcc, v[4:5], v[6:7]
	v_mov_b32_e32 v7, v5
	s_or_b64 s[20:21], vcc, s[20:21]
	v_mov_b32_e32 v6, v4
	s_andn2_b64 exec, exec, s[20:21]
	s_cbranch_execnz .LBB3_646
	s_branch .LBB3_564
.LBB3_647:                              ;   in Loop: Header=BB3_3 Depth=1
	s_branch .LBB3_677
.LBB3_648:                              ;   in Loop: Header=BB3_3 Depth=1
	s_branch .LBB3_810
.LBB3_649:                              ;   in Loop: Header=BB3_3 Depth=1
                                        ; implicit-def: $vgpr2_vgpr3
	s_cbranch_execz .LBB3_677
; %bb.650:                              ;   in Loop: Header=BB3_3 Depth=1
	v_readfirstlane_b32 s4, v47
	s_waitcnt vmcnt(0)
	v_mov_b32_e32 v2, 0
	v_mov_b32_e32 v3, 0
	v_cmp_eq_u32_e64 s[4:5], s4, v47
	s_and_saveexec_b64 s[10:11], s[4:5]
	s_cbranch_execz .LBB3_656
; %bb.651:                              ;   in Loop: Header=BB3_3 Depth=1
	global_load_dwordx2 v[4:5], v54, s[8:9] offset:24 glc
	s_waitcnt vmcnt(0)
	buffer_wbinvl1_vol
	global_load_dwordx2 v[2:3], v54, s[8:9] offset:40
	global_load_dwordx2 v[6:7], v54, s[8:9]
	s_waitcnt vmcnt(1)
	v_and_b32_e32 v2, v2, v4
	v_and_b32_e32 v3, v3, v5
	v_mul_lo_u32 v3, v3, 24
	v_mul_hi_u32 v8, v2, 24
	v_mul_lo_u32 v2, v2, 24
	v_add_u32_e32 v3, v8, v3
	s_waitcnt vmcnt(0)
	v_add_co_u32_e32 v2, vcc, v6, v2
	v_addc_co_u32_e32 v3, vcc, v7, v3, vcc
	global_load_dwordx2 v[2:3], v[2:3], off glc
	s_waitcnt vmcnt(0)
	global_atomic_cmpswap_x2 v[2:3], v54, v[2:5], s[8:9] offset:24 glc
	s_waitcnt vmcnt(0)
	buffer_wbinvl1_vol
	v_cmp_ne_u64_e32 vcc, v[2:3], v[4:5]
	s_and_saveexec_b64 s[12:13], vcc
	s_cbranch_execz .LBB3_655
; %bb.652:                              ;   in Loop: Header=BB3_3 Depth=1
	s_mov_b64 s[14:15], 0
.LBB3_653:                              ;   Parent Loop BB3_3 Depth=1
                                        ; =>  This Inner Loop Header: Depth=2
	s_sleep 1
	global_load_dwordx2 v[6:7], v54, s[8:9] offset:40
	global_load_dwordx2 v[8:9], v54, s[8:9]
	v_mov_b32_e32 v5, v3
	v_mov_b32_e32 v4, v2
	s_waitcnt vmcnt(1)
	v_and_b32_e32 v2, v6, v4
	s_waitcnt vmcnt(0)
	v_mad_u64_u32 v[2:3], s[16:17], v2, 24, v[8:9]
	v_and_b32_e32 v6, v7, v5
	v_mad_u64_u32 v[6:7], s[16:17], v6, 24, v[3:4]
	v_mov_b32_e32 v3, v6
	global_load_dwordx2 v[2:3], v[2:3], off glc
	s_waitcnt vmcnt(0)
	global_atomic_cmpswap_x2 v[2:3], v54, v[2:5], s[8:9] offset:24 glc
	s_waitcnt vmcnt(0)
	buffer_wbinvl1_vol
	v_cmp_eq_u64_e32 vcc, v[2:3], v[4:5]
	s_or_b64 s[14:15], vcc, s[14:15]
	s_andn2_b64 exec, exec, s[14:15]
	s_cbranch_execnz .LBB3_653
; %bb.654:                              ;   in Loop: Header=BB3_3 Depth=1
	s_or_b64 exec, exec, s[14:15]
.LBB3_655:                              ;   in Loop: Header=BB3_3 Depth=1
	s_or_b64 exec, exec, s[12:13]
.LBB3_656:                              ;   in Loop: Header=BB3_3 Depth=1
	s_or_b64 exec, exec, s[10:11]
	global_load_dwordx2 v[8:9], v54, s[8:9] offset:40
	global_load_dwordx4 v[4:7], v54, s[8:9]
	v_readfirstlane_b32 s11, v3
	v_readfirstlane_b32 s10, v2
	s_mov_b64 s[12:13], exec
	s_waitcnt vmcnt(1)
	v_readfirstlane_b32 s14, v8
	v_readfirstlane_b32 s15, v9
	s_and_b64 s[14:15], s[14:15], s[10:11]
	s_mul_i32 s16, s15, 24
	s_mul_hi_u32 s17, s14, 24
	s_mul_i32 s22, s14, 24
	s_add_i32 s16, s17, s16
	v_mov_b32_e32 v2, s16
	s_waitcnt vmcnt(0)
	v_add_co_u32_e32 v8, vcc, s22, v4
	v_addc_co_u32_e32 v9, vcc, v5, v2, vcc
	s_and_saveexec_b64 s[16:17], s[4:5]
	s_cbranch_execz .LBB3_658
; %bb.657:                              ;   in Loop: Header=BB3_3 Depth=1
	v_mov_b32_e32 v38, s13
	v_mov_b32_e32 v37, s12
	global_store_dwordx4 v[8:9], v[37:40], off offset:8
.LBB3_658:                              ;   in Loop: Header=BB3_3 Depth=1
	s_or_b64 exec, exec, s[16:17]
	s_lshl_b64 s[12:13], s[14:15], 12
	v_mov_b32_e32 v2, s13
	v_add_co_u32_e32 v6, vcc, s12, v6
	v_addc_co_u32_e32 v7, vcc, v7, v2, vcc
	v_and_or_b32 v0, v0, s48, 32
	v_mov_b32_e32 v2, v54
	v_mov_b32_e32 v3, v54
	v_readfirstlane_b32 s12, v6
	v_readfirstlane_b32 s13, v7
	s_mov_b32 s41, s40
	s_mov_b32 s42, s40
	;; [unrolled: 1-line block ×3, first 2 shown]
	s_nop 1
	global_store_dwordx4 v26, v[0:3], s[12:13]
	s_nop 0
	v_mov_b32_e32 v0, s40
	v_mov_b32_e32 v1, s41
	;; [unrolled: 1-line block ×4, first 2 shown]
	global_store_dwordx4 v26, v[0:3], s[12:13] offset:16
	global_store_dwordx4 v26, v[0:3], s[12:13] offset:32
	;; [unrolled: 1-line block ×3, first 2 shown]
	s_and_saveexec_b64 s[12:13], s[4:5]
	s_cbranch_execz .LBB3_666
; %bb.659:                              ;   in Loop: Header=BB3_3 Depth=1
	global_load_dwordx2 v[12:13], v54, s[8:9] offset:32 glc
	global_load_dwordx2 v[0:1], v54, s[8:9] offset:40
	v_mov_b32_e32 v10, s10
	v_mov_b32_e32 v11, s11
	s_waitcnt vmcnt(0)
	v_readfirstlane_b32 s14, v0
	v_readfirstlane_b32 s15, v1
	s_and_b64 s[14:15], s[14:15], s[10:11]
	s_mul_i32 s15, s15, 24
	s_mul_hi_u32 s16, s14, 24
	s_mul_i32 s14, s14, 24
	s_add_i32 s15, s16, s15
	v_mov_b32_e32 v0, s15
	v_add_co_u32_e32 v4, vcc, s14, v4
	v_addc_co_u32_e32 v5, vcc, v5, v0, vcc
	global_store_dwordx2 v[4:5], v[12:13], off
	s_waitcnt vmcnt(0)
	global_atomic_cmpswap_x2 v[2:3], v54, v[10:13], s[8:9] offset:32 glc
	s_waitcnt vmcnt(0)
	v_cmp_ne_u64_e32 vcc, v[2:3], v[12:13]
	s_and_saveexec_b64 s[14:15], vcc
	s_cbranch_execz .LBB3_662
; %bb.660:                              ;   in Loop: Header=BB3_3 Depth=1
	s_mov_b64 s[16:17], 0
.LBB3_661:                              ;   Parent Loop BB3_3 Depth=1
                                        ; =>  This Inner Loop Header: Depth=2
	s_sleep 1
	global_store_dwordx2 v[4:5], v[2:3], off
	v_mov_b32_e32 v0, s10
	v_mov_b32_e32 v1, s11
	s_waitcnt vmcnt(0)
	global_atomic_cmpswap_x2 v[0:1], v54, v[0:3], s[8:9] offset:32 glc
	s_waitcnt vmcnt(0)
	v_cmp_eq_u64_e32 vcc, v[0:1], v[2:3]
	v_mov_b32_e32 v3, v1
	s_or_b64 s[16:17], vcc, s[16:17]
	v_mov_b32_e32 v2, v0
	s_andn2_b64 exec, exec, s[16:17]
	s_cbranch_execnz .LBB3_661
.LBB3_662:                              ;   in Loop: Header=BB3_3 Depth=1
	s_or_b64 exec, exec, s[14:15]
	global_load_dwordx2 v[0:1], v54, s[8:9] offset:16
	s_mov_b64 s[16:17], exec
	v_mbcnt_lo_u32_b32 v2, s16, 0
	v_mbcnt_hi_u32_b32 v2, s17, v2
	v_cmp_eq_u32_e32 vcc, 0, v2
	s_and_saveexec_b64 s[14:15], vcc
	s_cbranch_execz .LBB3_664
; %bb.663:                              ;   in Loop: Header=BB3_3 Depth=1
	s_bcnt1_i32_b64 s16, s[16:17]
	v_mov_b32_e32 v53, s16
	s_waitcnt vmcnt(0)
	global_atomic_add_x2 v[0:1], v[53:54], off offset:8
.LBB3_664:                              ;   in Loop: Header=BB3_3 Depth=1
	s_or_b64 exec, exec, s[14:15]
	s_waitcnt vmcnt(0)
	global_load_dwordx2 v[2:3], v[0:1], off offset:16
	s_waitcnt vmcnt(0)
	v_cmp_eq_u64_e32 vcc, 0, v[2:3]
	s_cbranch_vccnz .LBB3_666
; %bb.665:                              ;   in Loop: Header=BB3_3 Depth=1
	global_load_dword v53, v[0:1], off offset:24
	s_waitcnt vmcnt(0)
	v_readfirstlane_b32 s14, v53
	s_and_b32 m0, s14, 0xffffff
	global_store_dwordx2 v[2:3], v[53:54], off
	s_sendmsg sendmsg(MSG_INTERRUPT)
.LBB3_666:                              ;   in Loop: Header=BB3_3 Depth=1
	s_or_b64 exec, exec, s[12:13]
	v_add_co_u32_e32 v0, vcc, v6, v26
	v_addc_co_u32_e32 v1, vcc, 0, v7, vcc
	s_branch .LBB3_670
.LBB3_667:                              ;   in Loop: Header=BB3_670 Depth=2
	s_or_b64 exec, exec, s[12:13]
	v_readfirstlane_b32 s12, v2
	s_cmp_eq_u32 s12, 0
	s_cbranch_scc1 .LBB3_669
; %bb.668:                              ;   in Loop: Header=BB3_670 Depth=2
	s_sleep 1
	s_cbranch_execnz .LBB3_670
	s_branch .LBB3_672
.LBB3_669:                              ;   in Loop: Header=BB3_3 Depth=1
	s_branch .LBB3_672
.LBB3_670:                              ;   Parent Loop BB3_3 Depth=1
                                        ; =>  This Inner Loop Header: Depth=2
	v_mov_b32_e32 v2, 1
	s_and_saveexec_b64 s[12:13], s[4:5]
	s_cbranch_execz .LBB3_667
; %bb.671:                              ;   in Loop: Header=BB3_670 Depth=2
	global_load_dword v2, v[8:9], off offset:20 glc
	s_waitcnt vmcnt(0)
	buffer_wbinvl1_vol
	v_and_b32_e32 v2, 1, v2
	s_branch .LBB3_667
.LBB3_672:                              ;   in Loop: Header=BB3_3 Depth=1
	global_load_dwordx2 v[2:3], v[0:1], off
	s_and_saveexec_b64 s[12:13], s[4:5]
	s_cbranch_execz .LBB3_676
; %bb.673:                              ;   in Loop: Header=BB3_3 Depth=1
	global_load_dwordx2 v[0:1], v54, s[8:9] offset:40
	global_load_dwordx2 v[8:9], v54, s[8:9] offset:24 glc
	global_load_dwordx2 v[4:5], v54, s[8:9]
	s_waitcnt vmcnt(2)
	v_readfirstlane_b32 s14, v0
	v_readfirstlane_b32 s15, v1
	s_add_u32 s16, s14, 1
	s_addc_u32 s17, s15, 0
	s_add_u32 s4, s16, s10
	s_addc_u32 s5, s17, s11
	s_cmp_eq_u64 s[4:5], 0
	s_cselect_b32 s5, s17, s5
	s_cselect_b32 s4, s16, s4
	s_and_b64 s[10:11], s[4:5], s[14:15]
	s_mul_i32 s11, s11, 24
	s_mul_hi_u32 s14, s10, 24
	s_mul_i32 s10, s10, 24
	s_add_i32 s11, s14, s11
	v_mov_b32_e32 v1, s11
	s_waitcnt vmcnt(0)
	v_add_co_u32_e32 v0, vcc, s10, v4
	v_addc_co_u32_e32 v1, vcc, v5, v1, vcc
	v_mov_b32_e32 v6, s4
	global_store_dwordx2 v[0:1], v[8:9], off
	v_mov_b32_e32 v7, s5
	s_waitcnt vmcnt(0)
	global_atomic_cmpswap_x2 v[6:7], v54, v[6:9], s[8:9] offset:24 glc
	s_waitcnt vmcnt(0)
	v_cmp_ne_u64_e32 vcc, v[6:7], v[8:9]
	s_and_b64 exec, exec, vcc
	s_cbranch_execz .LBB3_676
; %bb.674:                              ;   in Loop: Header=BB3_3 Depth=1
	s_mov_b64 s[10:11], 0
.LBB3_675:                              ;   Parent Loop BB3_3 Depth=1
                                        ; =>  This Inner Loop Header: Depth=2
	s_sleep 1
	global_store_dwordx2 v[0:1], v[6:7], off
	v_mov_b32_e32 v4, s4
	v_mov_b32_e32 v5, s5
	s_waitcnt vmcnt(0)
	global_atomic_cmpswap_x2 v[4:5], v54, v[4:7], s[8:9] offset:24 glc
	s_waitcnt vmcnt(0)
	v_cmp_eq_u64_e32 vcc, v[4:5], v[6:7]
	v_mov_b32_e32 v7, v5
	s_or_b64 s[10:11], vcc, s[10:11]
	v_mov_b32_e32 v6, v4
	s_andn2_b64 exec, exec, s[10:11]
	s_cbranch_execnz .LBB3_675
.LBB3_676:                              ;   in Loop: Header=BB3_3 Depth=1
	s_or_b64 exec, exec, s[12:13]
.LBB3_677:                              ;   in Loop: Header=BB3_3 Depth=1
	v_readfirstlane_b32 s4, v47
	s_waitcnt vmcnt(0)
	v_mov_b32_e32 v0, 0
	v_mov_b32_e32 v1, 0
	v_cmp_eq_u32_e64 s[4:5], s4, v47
	s_and_saveexec_b64 s[10:11], s[4:5]
	s_cbranch_execz .LBB3_683
; %bb.678:                              ;   in Loop: Header=BB3_3 Depth=1
	global_load_dwordx2 v[6:7], v54, s[8:9] offset:24 glc
	s_waitcnt vmcnt(0)
	buffer_wbinvl1_vol
	global_load_dwordx2 v[0:1], v54, s[8:9] offset:40
	global_load_dwordx2 v[4:5], v54, s[8:9]
	s_waitcnt vmcnt(1)
	v_and_b32_e32 v0, v0, v6
	v_and_b32_e32 v1, v1, v7
	v_mul_lo_u32 v1, v1, 24
	v_mul_hi_u32 v8, v0, 24
	v_mul_lo_u32 v0, v0, 24
	v_add_u32_e32 v1, v8, v1
	s_waitcnt vmcnt(0)
	v_add_co_u32_e32 v0, vcc, v4, v0
	v_addc_co_u32_e32 v1, vcc, v5, v1, vcc
	global_load_dwordx2 v[4:5], v[0:1], off glc
	s_waitcnt vmcnt(0)
	global_atomic_cmpswap_x2 v[0:1], v54, v[4:7], s[8:9] offset:24 glc
	s_waitcnt vmcnt(0)
	buffer_wbinvl1_vol
	v_cmp_ne_u64_e32 vcc, v[0:1], v[6:7]
	s_and_saveexec_b64 s[12:13], vcc
	s_cbranch_execz .LBB3_682
; %bb.679:                              ;   in Loop: Header=BB3_3 Depth=1
	s_mov_b64 s[14:15], 0
.LBB3_680:                              ;   Parent Loop BB3_3 Depth=1
                                        ; =>  This Inner Loop Header: Depth=2
	s_sleep 1
	global_load_dwordx2 v[4:5], v54, s[8:9] offset:40
	global_load_dwordx2 v[8:9], v54, s[8:9]
	v_mov_b32_e32 v7, v1
	v_mov_b32_e32 v6, v0
	s_waitcnt vmcnt(1)
	v_and_b32_e32 v0, v4, v6
	s_waitcnt vmcnt(0)
	v_mad_u64_u32 v[0:1], s[16:17], v0, 24, v[8:9]
	v_and_b32_e32 v4, v5, v7
	v_mad_u64_u32 v[4:5], s[16:17], v4, 24, v[1:2]
	v_mov_b32_e32 v1, v4
	global_load_dwordx2 v[4:5], v[0:1], off glc
	s_waitcnt vmcnt(0)
	global_atomic_cmpswap_x2 v[0:1], v54, v[4:7], s[8:9] offset:24 glc
	s_waitcnt vmcnt(0)
	buffer_wbinvl1_vol
	v_cmp_eq_u64_e32 vcc, v[0:1], v[6:7]
	s_or_b64 s[14:15], vcc, s[14:15]
	s_andn2_b64 exec, exec, s[14:15]
	s_cbranch_execnz .LBB3_680
; %bb.681:                              ;   in Loop: Header=BB3_3 Depth=1
	s_or_b64 exec, exec, s[14:15]
.LBB3_682:                              ;   in Loop: Header=BB3_3 Depth=1
	s_or_b64 exec, exec, s[12:13]
.LBB3_683:                              ;   in Loop: Header=BB3_3 Depth=1
	s_or_b64 exec, exec, s[10:11]
	global_load_dwordx2 v[4:5], v54, s[8:9] offset:40
	global_load_dwordx4 v[6:9], v54, s[8:9]
	v_readfirstlane_b32 s11, v1
	v_readfirstlane_b32 s10, v0
	s_mov_b64 s[12:13], exec
	s_waitcnt vmcnt(1)
	v_readfirstlane_b32 s14, v4
	v_readfirstlane_b32 s15, v5
	s_and_b64 s[14:15], s[14:15], s[10:11]
	s_mul_i32 s16, s15, 24
	s_mul_hi_u32 s17, s14, 24
	s_mul_i32 s22, s14, 24
	s_add_i32 s16, s17, s16
	v_mov_b32_e32 v0, s16
	s_waitcnt vmcnt(0)
	v_add_co_u32_e32 v10, vcc, s22, v6
	v_addc_co_u32_e32 v11, vcc, v7, v0, vcc
	s_and_saveexec_b64 s[16:17], s[4:5]
	s_cbranch_execz .LBB3_685
; %bb.684:                              ;   in Loop: Header=BB3_3 Depth=1
	v_mov_b32_e32 v38, s13
	v_mov_b32_e32 v37, s12
	global_store_dwordx4 v[10:11], v[37:40], off offset:8
.LBB3_685:                              ;   in Loop: Header=BB3_3 Depth=1
	s_or_b64 exec, exec, s[16:17]
	s_lshl_b64 s[12:13], s[14:15], 12
	v_mov_b32_e32 v0, s13
	v_add_co_u32_e32 v8, vcc, s12, v8
	v_addc_co_u32_e32 v9, vcc, v9, v0, vcc
	v_and_or_b32 v2, v2, s48, 32
	v_mov_b32_e32 v4, v50
	v_mov_b32_e32 v5, v51
	v_readfirstlane_b32 s12, v8
	v_readfirstlane_b32 s13, v9
	s_mov_b32 s41, s40
	s_mov_b32 s42, s40
	;; [unrolled: 1-line block ×3, first 2 shown]
	s_nop 1
	global_store_dwordx4 v26, v[2:5], s[12:13]
	v_mov_b32_e32 v0, s40
	v_mov_b32_e32 v1, s41
	;; [unrolled: 1-line block ×4, first 2 shown]
	global_store_dwordx4 v26, v[0:3], s[12:13] offset:16
	global_store_dwordx4 v26, v[0:3], s[12:13] offset:32
	;; [unrolled: 1-line block ×3, first 2 shown]
	s_and_saveexec_b64 s[12:13], s[4:5]
	s_cbranch_execz .LBB3_693
; %bb.686:                              ;   in Loop: Header=BB3_3 Depth=1
	global_load_dwordx2 v[14:15], v54, s[8:9] offset:32 glc
	global_load_dwordx2 v[0:1], v54, s[8:9] offset:40
	v_mov_b32_e32 v12, s10
	v_mov_b32_e32 v13, s11
	s_waitcnt vmcnt(0)
	v_readfirstlane_b32 s14, v0
	v_readfirstlane_b32 s15, v1
	s_and_b64 s[14:15], s[14:15], s[10:11]
	s_mul_i32 s15, s15, 24
	s_mul_hi_u32 s16, s14, 24
	s_mul_i32 s14, s14, 24
	s_add_i32 s15, s16, s15
	v_mov_b32_e32 v0, s15
	v_add_co_u32_e32 v4, vcc, s14, v6
	v_addc_co_u32_e32 v5, vcc, v7, v0, vcc
	global_store_dwordx2 v[4:5], v[14:15], off
	s_waitcnt vmcnt(0)
	global_atomic_cmpswap_x2 v[2:3], v54, v[12:15], s[8:9] offset:32 glc
	s_waitcnt vmcnt(0)
	v_cmp_ne_u64_e32 vcc, v[2:3], v[14:15]
	s_and_saveexec_b64 s[14:15], vcc
	s_cbranch_execz .LBB3_689
; %bb.687:                              ;   in Loop: Header=BB3_3 Depth=1
	s_mov_b64 s[16:17], 0
.LBB3_688:                              ;   Parent Loop BB3_3 Depth=1
                                        ; =>  This Inner Loop Header: Depth=2
	s_sleep 1
	global_store_dwordx2 v[4:5], v[2:3], off
	v_mov_b32_e32 v0, s10
	v_mov_b32_e32 v1, s11
	s_waitcnt vmcnt(0)
	global_atomic_cmpswap_x2 v[0:1], v54, v[0:3], s[8:9] offset:32 glc
	s_waitcnt vmcnt(0)
	v_cmp_eq_u64_e32 vcc, v[0:1], v[2:3]
	v_mov_b32_e32 v3, v1
	s_or_b64 s[16:17], vcc, s[16:17]
	v_mov_b32_e32 v2, v0
	s_andn2_b64 exec, exec, s[16:17]
	s_cbranch_execnz .LBB3_688
.LBB3_689:                              ;   in Loop: Header=BB3_3 Depth=1
	s_or_b64 exec, exec, s[14:15]
	global_load_dwordx2 v[0:1], v54, s[8:9] offset:16
	s_mov_b64 s[16:17], exec
	v_mbcnt_lo_u32_b32 v2, s16, 0
	v_mbcnt_hi_u32_b32 v2, s17, v2
	v_cmp_eq_u32_e32 vcc, 0, v2
	s_and_saveexec_b64 s[14:15], vcc
	s_cbranch_execz .LBB3_691
; %bb.690:                              ;   in Loop: Header=BB3_3 Depth=1
	s_bcnt1_i32_b64 s16, s[16:17]
	v_mov_b32_e32 v53, s16
	s_waitcnt vmcnt(0)
	global_atomic_add_x2 v[0:1], v[53:54], off offset:8
.LBB3_691:                              ;   in Loop: Header=BB3_3 Depth=1
	s_or_b64 exec, exec, s[14:15]
	s_waitcnt vmcnt(0)
	global_load_dwordx2 v[2:3], v[0:1], off offset:16
	s_waitcnt vmcnt(0)
	v_cmp_eq_u64_e32 vcc, 0, v[2:3]
	s_cbranch_vccnz .LBB3_693
; %bb.692:                              ;   in Loop: Header=BB3_3 Depth=1
	global_load_dword v53, v[0:1], off offset:24
	s_waitcnt vmcnt(0)
	v_readfirstlane_b32 s14, v53
	s_and_b32 m0, s14, 0xffffff
	global_store_dwordx2 v[2:3], v[53:54], off
	s_sendmsg sendmsg(MSG_INTERRUPT)
.LBB3_693:                              ;   in Loop: Header=BB3_3 Depth=1
	s_or_b64 exec, exec, s[12:13]
	v_add_co_u32_e32 v0, vcc, v8, v26
	v_addc_co_u32_e32 v1, vcc, 0, v9, vcc
	s_branch .LBB3_697
.LBB3_694:                              ;   in Loop: Header=BB3_697 Depth=2
	s_or_b64 exec, exec, s[12:13]
	v_readfirstlane_b32 s12, v2
	s_cmp_eq_u32 s12, 0
	s_cbranch_scc1 .LBB3_696
; %bb.695:                              ;   in Loop: Header=BB3_697 Depth=2
	s_sleep 1
	s_cbranch_execnz .LBB3_697
	s_branch .LBB3_699
.LBB3_696:                              ;   in Loop: Header=BB3_3 Depth=1
	s_branch .LBB3_699
.LBB3_697:                              ;   Parent Loop BB3_3 Depth=1
                                        ; =>  This Inner Loop Header: Depth=2
	v_mov_b32_e32 v2, 1
	s_and_saveexec_b64 s[12:13], s[4:5]
	s_cbranch_execz .LBB3_694
; %bb.698:                              ;   in Loop: Header=BB3_697 Depth=2
	global_load_dword v2, v[10:11], off offset:20 glc
	s_waitcnt vmcnt(0)
	buffer_wbinvl1_vol
	v_and_b32_e32 v2, 1, v2
	s_branch .LBB3_694
.LBB3_699:                              ;   in Loop: Header=BB3_3 Depth=1
	global_load_dwordx2 v[48:49], v[0:1], off
	s_and_saveexec_b64 s[12:13], s[4:5]
	s_cbranch_execz .LBB3_703
; %bb.700:                              ;   in Loop: Header=BB3_3 Depth=1
	global_load_dwordx2 v[0:1], v54, s[8:9] offset:40
	global_load_dwordx2 v[8:9], v54, s[8:9] offset:24 glc
	global_load_dwordx2 v[2:3], v54, s[8:9]
	s_waitcnt vmcnt(2)
	v_readfirstlane_b32 s14, v0
	v_readfirstlane_b32 s15, v1
	s_add_u32 s16, s14, 1
	s_addc_u32 s17, s15, 0
	s_add_u32 s4, s16, s10
	s_addc_u32 s5, s17, s11
	s_cmp_eq_u64 s[4:5], 0
	s_cselect_b32 s5, s17, s5
	s_cselect_b32 s4, s16, s4
	s_and_b64 s[10:11], s[4:5], s[14:15]
	s_mul_i32 s11, s11, 24
	s_mul_hi_u32 s14, s10, 24
	s_mul_i32 s10, s10, 24
	s_add_i32 s11, s14, s11
	v_mov_b32_e32 v0, s11
	s_waitcnt vmcnt(0)
	v_add_co_u32_e32 v4, vcc, s10, v2
	v_addc_co_u32_e32 v5, vcc, v3, v0, vcc
	v_mov_b32_e32 v6, s4
	global_store_dwordx2 v[4:5], v[8:9], off
	v_mov_b32_e32 v7, s5
	s_waitcnt vmcnt(0)
	global_atomic_cmpswap_x2 v[2:3], v54, v[6:9], s[8:9] offset:24 glc
	s_waitcnt vmcnt(0)
	v_cmp_ne_u64_e32 vcc, v[2:3], v[8:9]
	s_and_b64 exec, exec, vcc
	s_cbranch_execz .LBB3_703
; %bb.701:                              ;   in Loop: Header=BB3_3 Depth=1
	s_mov_b64 s[10:11], 0
.LBB3_702:                              ;   Parent Loop BB3_3 Depth=1
                                        ; =>  This Inner Loop Header: Depth=2
	s_sleep 1
	global_store_dwordx2 v[4:5], v[2:3], off
	v_mov_b32_e32 v0, s4
	v_mov_b32_e32 v1, s5
	s_waitcnt vmcnt(0)
	global_atomic_cmpswap_x2 v[0:1], v54, v[0:3], s[8:9] offset:24 glc
	s_waitcnt vmcnt(0)
	v_cmp_eq_u64_e32 vcc, v[0:1], v[2:3]
	v_mov_b32_e32 v3, v1
	s_or_b64 s[10:11], vcc, s[10:11]
	v_mov_b32_e32 v2, v0
	s_andn2_b64 exec, exec, s[10:11]
	s_cbranch_execnz .LBB3_702
.LBB3_703:                              ;   in Loop: Header=BB3_3 Depth=1
	s_or_b64 exec, exec, s[12:13]
	v_readfirstlane_b32 s4, v47
	v_mov_b32_e32 v4, 0
	v_mov_b32_e32 v5, 0
	v_cmp_eq_u32_e64 s[4:5], s4, v47
	s_and_saveexec_b64 s[10:11], s[4:5]
	s_cbranch_execz .LBB3_709
; %bb.704:                              ;   in Loop: Header=BB3_3 Depth=1
	global_load_dwordx2 v[2:3], v54, s[8:9] offset:24 glc
	s_waitcnt vmcnt(0)
	buffer_wbinvl1_vol
	global_load_dwordx2 v[0:1], v54, s[8:9] offset:40
	global_load_dwordx2 v[4:5], v54, s[8:9]
	s_waitcnt vmcnt(1)
	v_and_b32_e32 v0, v0, v2
	v_and_b32_e32 v1, v1, v3
	v_mul_lo_u32 v1, v1, 24
	v_mul_hi_u32 v6, v0, 24
	v_mul_lo_u32 v0, v0, 24
	v_add_u32_e32 v1, v6, v1
	s_waitcnt vmcnt(0)
	v_add_co_u32_e32 v0, vcc, v4, v0
	v_addc_co_u32_e32 v1, vcc, v5, v1, vcc
	global_load_dwordx2 v[0:1], v[0:1], off glc
	s_waitcnt vmcnt(0)
	global_atomic_cmpswap_x2 v[4:5], v54, v[0:3], s[8:9] offset:24 glc
	s_waitcnt vmcnt(0)
	buffer_wbinvl1_vol
	v_cmp_ne_u64_e32 vcc, v[4:5], v[2:3]
	s_and_saveexec_b64 s[12:13], vcc
	s_cbranch_execz .LBB3_708
; %bb.705:                              ;   in Loop: Header=BB3_3 Depth=1
	s_mov_b64 s[14:15], 0
.LBB3_706:                              ;   Parent Loop BB3_3 Depth=1
                                        ; =>  This Inner Loop Header: Depth=2
	s_sleep 1
	global_load_dwordx2 v[0:1], v54, s[8:9] offset:40
	global_load_dwordx2 v[6:7], v54, s[8:9]
	v_mov_b32_e32 v2, v4
	v_mov_b32_e32 v3, v5
	s_waitcnt vmcnt(1)
	v_and_b32_e32 v0, v0, v2
	s_waitcnt vmcnt(0)
	v_mad_u64_u32 v[4:5], s[16:17], v0, 24, v[6:7]
	v_and_b32_e32 v1, v1, v3
	v_mov_b32_e32 v0, v5
	v_mad_u64_u32 v[0:1], s[16:17], v1, 24, v[0:1]
	v_mov_b32_e32 v5, v0
	global_load_dwordx2 v[0:1], v[4:5], off glc
	s_waitcnt vmcnt(0)
	global_atomic_cmpswap_x2 v[4:5], v54, v[0:3], s[8:9] offset:24 glc
	s_waitcnt vmcnt(0)
	buffer_wbinvl1_vol
	v_cmp_eq_u64_e32 vcc, v[4:5], v[2:3]
	s_or_b64 s[14:15], vcc, s[14:15]
	s_andn2_b64 exec, exec, s[14:15]
	s_cbranch_execnz .LBB3_706
; %bb.707:                              ;   in Loop: Header=BB3_3 Depth=1
	s_or_b64 exec, exec, s[14:15]
.LBB3_708:                              ;   in Loop: Header=BB3_3 Depth=1
	s_or_b64 exec, exec, s[12:13]
.LBB3_709:                              ;   in Loop: Header=BB3_3 Depth=1
	s_or_b64 exec, exec, s[10:11]
	global_load_dwordx2 v[6:7], v54, s[8:9] offset:40
	global_load_dwordx4 v[0:3], v54, s[8:9]
	v_readfirstlane_b32 s11, v5
	v_readfirstlane_b32 s10, v4
	s_mov_b64 s[12:13], exec
	s_waitcnt vmcnt(1)
	v_readfirstlane_b32 s14, v6
	v_readfirstlane_b32 s15, v7
	s_and_b64 s[14:15], s[14:15], s[10:11]
	s_mul_i32 s16, s15, 24
	s_mul_hi_u32 s17, s14, 24
	s_mul_i32 s22, s14, 24
	s_add_i32 s16, s17, s16
	v_mov_b32_e32 v5, s16
	s_waitcnt vmcnt(0)
	v_add_co_u32_e32 v4, vcc, s22, v0
	v_addc_co_u32_e32 v5, vcc, v1, v5, vcc
	s_and_saveexec_b64 s[16:17], s[4:5]
	s_cbranch_execz .LBB3_711
; %bb.710:                              ;   in Loop: Header=BB3_3 Depth=1
	v_mov_b32_e32 v38, s13
	v_mov_b32_e32 v37, s12
	global_store_dwordx4 v[4:5], v[37:40], off offset:8
.LBB3_711:                              ;   in Loop: Header=BB3_3 Depth=1
	s_or_b64 exec, exec, s[16:17]
	s_lshl_b64 s[12:13], s[14:15], 12
	v_mov_b32_e32 v6, s13
	v_add_co_u32_e32 v8, vcc, s12, v2
	v_addc_co_u32_e32 v9, vcc, v3, v6, vcc
	s_mov_b32 s41, s40
	s_mov_b32 s42, s40
	s_mov_b32 s43, s40
	v_mov_b32_e32 v10, s40
	v_and_or_b32 v48, v48, s48, 32
	v_readfirstlane_b32 s12, v8
	v_readfirstlane_b32 s13, v9
	v_mov_b32_e32 v11, s41
	v_mov_b32_e32 v12, s42
	;; [unrolled: 1-line block ×3, first 2 shown]
	s_nop 1
	global_store_dwordx4 v26, v[48:51], s[12:13]
	global_store_dwordx4 v26, v[10:13], s[12:13] offset:16
	global_store_dwordx4 v26, v[10:13], s[12:13] offset:32
	;; [unrolled: 1-line block ×3, first 2 shown]
	s_and_saveexec_b64 s[12:13], s[4:5]
	s_cbranch_execz .LBB3_719
; %bb.712:                              ;   in Loop: Header=BB3_3 Depth=1
	global_load_dwordx2 v[12:13], v54, s[8:9] offset:32 glc
	global_load_dwordx2 v[2:3], v54, s[8:9] offset:40
	v_mov_b32_e32 v10, s10
	v_mov_b32_e32 v11, s11
	s_waitcnt vmcnt(0)
	v_readfirstlane_b32 s14, v2
	v_readfirstlane_b32 s15, v3
	s_and_b64 s[14:15], s[14:15], s[10:11]
	s_mul_i32 s15, s15, 24
	s_mul_hi_u32 s16, s14, 24
	s_mul_i32 s14, s14, 24
	s_add_i32 s15, s16, s15
	v_mov_b32_e32 v2, s15
	v_add_co_u32_e32 v6, vcc, s14, v0
	v_addc_co_u32_e32 v7, vcc, v1, v2, vcc
	global_store_dwordx2 v[6:7], v[12:13], off
	s_waitcnt vmcnt(0)
	global_atomic_cmpswap_x2 v[2:3], v54, v[10:13], s[8:9] offset:32 glc
	s_waitcnt vmcnt(0)
	v_cmp_ne_u64_e32 vcc, v[2:3], v[12:13]
	s_and_saveexec_b64 s[14:15], vcc
	s_cbranch_execz .LBB3_715
; %bb.713:                              ;   in Loop: Header=BB3_3 Depth=1
	s_mov_b64 s[16:17], 0
.LBB3_714:                              ;   Parent Loop BB3_3 Depth=1
                                        ; =>  This Inner Loop Header: Depth=2
	s_sleep 1
	global_store_dwordx2 v[6:7], v[2:3], off
	v_mov_b32_e32 v0, s10
	v_mov_b32_e32 v1, s11
	s_waitcnt vmcnt(0)
	global_atomic_cmpswap_x2 v[0:1], v54, v[0:3], s[8:9] offset:32 glc
	s_waitcnt vmcnt(0)
	v_cmp_eq_u64_e32 vcc, v[0:1], v[2:3]
	v_mov_b32_e32 v3, v1
	s_or_b64 s[16:17], vcc, s[16:17]
	v_mov_b32_e32 v2, v0
	s_andn2_b64 exec, exec, s[16:17]
	s_cbranch_execnz .LBB3_714
.LBB3_715:                              ;   in Loop: Header=BB3_3 Depth=1
	s_or_b64 exec, exec, s[14:15]
	global_load_dwordx2 v[0:1], v54, s[8:9] offset:16
	s_mov_b64 s[16:17], exec
	v_mbcnt_lo_u32_b32 v2, s16, 0
	v_mbcnt_hi_u32_b32 v2, s17, v2
	v_cmp_eq_u32_e32 vcc, 0, v2
	s_and_saveexec_b64 s[14:15], vcc
	s_cbranch_execz .LBB3_717
; %bb.716:                              ;   in Loop: Header=BB3_3 Depth=1
	s_bcnt1_i32_b64 s16, s[16:17]
	v_mov_b32_e32 v53, s16
	s_waitcnt vmcnt(0)
	global_atomic_add_x2 v[0:1], v[53:54], off offset:8
.LBB3_717:                              ;   in Loop: Header=BB3_3 Depth=1
	s_or_b64 exec, exec, s[14:15]
	s_waitcnt vmcnt(0)
	global_load_dwordx2 v[2:3], v[0:1], off offset:16
	s_waitcnt vmcnt(0)
	v_cmp_eq_u64_e32 vcc, 0, v[2:3]
	s_cbranch_vccnz .LBB3_719
; %bb.718:                              ;   in Loop: Header=BB3_3 Depth=1
	global_load_dword v53, v[0:1], off offset:24
	s_waitcnt vmcnt(0)
	v_readfirstlane_b32 s14, v53
	s_and_b32 m0, s14, 0xffffff
	global_store_dwordx2 v[2:3], v[53:54], off
	s_sendmsg sendmsg(MSG_INTERRUPT)
.LBB3_719:                              ;   in Loop: Header=BB3_3 Depth=1
	s_or_b64 exec, exec, s[12:13]
	v_add_co_u32_e32 v0, vcc, v8, v26
	v_addc_co_u32_e32 v1, vcc, 0, v9, vcc
	s_branch .LBB3_723
.LBB3_720:                              ;   in Loop: Header=BB3_723 Depth=2
	s_or_b64 exec, exec, s[12:13]
	v_readfirstlane_b32 s12, v2
	s_cmp_eq_u32 s12, 0
	s_cbranch_scc1 .LBB3_722
; %bb.721:                              ;   in Loop: Header=BB3_723 Depth=2
	s_sleep 1
	s_cbranch_execnz .LBB3_723
	s_branch .LBB3_725
.LBB3_722:                              ;   in Loop: Header=BB3_3 Depth=1
	s_branch .LBB3_725
.LBB3_723:                              ;   Parent Loop BB3_3 Depth=1
                                        ; =>  This Inner Loop Header: Depth=2
	v_mov_b32_e32 v2, 1
	s_and_saveexec_b64 s[12:13], s[4:5]
	s_cbranch_execz .LBB3_720
; %bb.724:                              ;   in Loop: Header=BB3_723 Depth=2
	global_load_dword v2, v[4:5], off offset:20 glc
	s_waitcnt vmcnt(0)
	buffer_wbinvl1_vol
	v_and_b32_e32 v2, 1, v2
	s_branch .LBB3_720
.LBB3_725:                              ;   in Loop: Header=BB3_3 Depth=1
	global_load_dwordx2 v[0:1], v[0:1], off
	s_and_saveexec_b64 s[12:13], s[4:5]
	s_cbranch_execz .LBB3_729
; %bb.726:                              ;   in Loop: Header=BB3_3 Depth=1
	global_load_dwordx2 v[2:3], v54, s[8:9] offset:40
	global_load_dwordx2 v[10:11], v54, s[8:9] offset:24 glc
	global_load_dwordx2 v[4:5], v54, s[8:9]
	s_waitcnt vmcnt(2)
	v_readfirstlane_b32 s14, v2
	v_readfirstlane_b32 s15, v3
	s_add_u32 s16, s14, 1
	s_addc_u32 s17, s15, 0
	s_add_u32 s4, s16, s10
	s_addc_u32 s5, s17, s11
	s_cmp_eq_u64 s[4:5], 0
	s_cselect_b32 s5, s17, s5
	s_cselect_b32 s4, s16, s4
	s_and_b64 s[10:11], s[4:5], s[14:15]
	s_mul_i32 s11, s11, 24
	s_mul_hi_u32 s14, s10, 24
	s_mul_i32 s10, s10, 24
	s_add_i32 s11, s14, s11
	v_mov_b32_e32 v2, s11
	s_waitcnt vmcnt(0)
	v_add_co_u32_e32 v6, vcc, s10, v4
	v_addc_co_u32_e32 v7, vcc, v5, v2, vcc
	v_mov_b32_e32 v8, s4
	global_store_dwordx2 v[6:7], v[10:11], off
	v_mov_b32_e32 v9, s5
	s_waitcnt vmcnt(0)
	global_atomic_cmpswap_x2 v[4:5], v54, v[8:11], s[8:9] offset:24 glc
	s_waitcnt vmcnt(0)
	v_cmp_ne_u64_e32 vcc, v[4:5], v[10:11]
	s_and_b64 exec, exec, vcc
	s_cbranch_execz .LBB3_729
; %bb.727:                              ;   in Loop: Header=BB3_3 Depth=1
	s_mov_b64 s[10:11], 0
.LBB3_728:                              ;   Parent Loop BB3_3 Depth=1
                                        ; =>  This Inner Loop Header: Depth=2
	s_sleep 1
	global_store_dwordx2 v[6:7], v[4:5], off
	v_mov_b32_e32 v2, s4
	v_mov_b32_e32 v3, s5
	s_waitcnt vmcnt(0)
	global_atomic_cmpswap_x2 v[2:3], v54, v[2:5], s[8:9] offset:24 glc
	s_waitcnt vmcnt(0)
	v_cmp_eq_u64_e32 vcc, v[2:3], v[4:5]
	v_mov_b32_e32 v5, v3
	s_or_b64 s[10:11], vcc, s[10:11]
	v_mov_b32_e32 v4, v2
	s_andn2_b64 exec, exec, s[10:11]
	s_cbranch_execnz .LBB3_728
.LBB3_729:                              ;   in Loop: Header=BB3_3 Depth=1
	s_or_b64 exec, exec, s[12:13]
	v_readfirstlane_b32 s4, v47
	v_mov_b32_e32 v2, 0
	v_mov_b32_e32 v3, 0
	v_cmp_eq_u32_e64 s[4:5], s4, v47
	s_and_saveexec_b64 s[10:11], s[4:5]
	s_cbranch_execz .LBB3_735
; %bb.730:                              ;   in Loop: Header=BB3_3 Depth=1
	global_load_dwordx2 v[4:5], v54, s[8:9] offset:24 glc
	s_waitcnt vmcnt(0)
	buffer_wbinvl1_vol
	global_load_dwordx2 v[2:3], v54, s[8:9] offset:40
	global_load_dwordx2 v[6:7], v54, s[8:9]
	s_waitcnt vmcnt(1)
	v_and_b32_e32 v2, v2, v4
	v_and_b32_e32 v3, v3, v5
	v_mul_lo_u32 v3, v3, 24
	v_mul_hi_u32 v8, v2, 24
	v_mul_lo_u32 v2, v2, 24
	v_add_u32_e32 v3, v8, v3
	s_waitcnt vmcnt(0)
	v_add_co_u32_e32 v2, vcc, v6, v2
	v_addc_co_u32_e32 v3, vcc, v7, v3, vcc
	global_load_dwordx2 v[2:3], v[2:3], off glc
	s_waitcnt vmcnt(0)
	global_atomic_cmpswap_x2 v[2:3], v54, v[2:5], s[8:9] offset:24 glc
	s_waitcnt vmcnt(0)
	buffer_wbinvl1_vol
	v_cmp_ne_u64_e32 vcc, v[2:3], v[4:5]
	s_and_saveexec_b64 s[12:13], vcc
	s_cbranch_execz .LBB3_734
; %bb.731:                              ;   in Loop: Header=BB3_3 Depth=1
	s_mov_b64 s[14:15], 0
.LBB3_732:                              ;   Parent Loop BB3_3 Depth=1
                                        ; =>  This Inner Loop Header: Depth=2
	s_sleep 1
	global_load_dwordx2 v[6:7], v54, s[8:9] offset:40
	global_load_dwordx2 v[8:9], v54, s[8:9]
	v_mov_b32_e32 v5, v3
	v_mov_b32_e32 v4, v2
	s_waitcnt vmcnt(1)
	v_and_b32_e32 v2, v6, v4
	s_waitcnt vmcnt(0)
	v_mad_u64_u32 v[2:3], s[16:17], v2, 24, v[8:9]
	v_and_b32_e32 v6, v7, v5
	v_mad_u64_u32 v[6:7], s[16:17], v6, 24, v[3:4]
	v_mov_b32_e32 v3, v6
	global_load_dwordx2 v[2:3], v[2:3], off glc
	s_waitcnt vmcnt(0)
	global_atomic_cmpswap_x2 v[2:3], v54, v[2:5], s[8:9] offset:24 glc
	s_waitcnt vmcnt(0)
	buffer_wbinvl1_vol
	v_cmp_eq_u64_e32 vcc, v[2:3], v[4:5]
	s_or_b64 s[14:15], vcc, s[14:15]
	s_andn2_b64 exec, exec, s[14:15]
	s_cbranch_execnz .LBB3_732
; %bb.733:                              ;   in Loop: Header=BB3_3 Depth=1
	s_or_b64 exec, exec, s[14:15]
.LBB3_734:                              ;   in Loop: Header=BB3_3 Depth=1
	s_or_b64 exec, exec, s[12:13]
.LBB3_735:                              ;   in Loop: Header=BB3_3 Depth=1
	s_or_b64 exec, exec, s[10:11]
	global_load_dwordx2 v[8:9], v54, s[8:9] offset:40
	global_load_dwordx4 v[4:7], v54, s[8:9]
	v_readfirstlane_b32 s11, v3
	v_readfirstlane_b32 s10, v2
	s_mov_b64 s[14:15], exec
	s_waitcnt vmcnt(1)
	v_readfirstlane_b32 s12, v8
	v_readfirstlane_b32 s13, v9
	s_and_b64 s[12:13], s[12:13], s[10:11]
	s_mul_i32 s16, s13, 24
	s_mul_hi_u32 s17, s12, 24
	s_mul_i32 s22, s12, 24
	s_add_i32 s16, s17, s16
	v_mov_b32_e32 v2, s16
	s_waitcnt vmcnt(0)
	v_add_co_u32_e32 v8, vcc, s22, v4
	v_addc_co_u32_e32 v9, vcc, v5, v2, vcc
	s_and_saveexec_b64 s[16:17], s[4:5]
	s_cbranch_execz .LBB3_737
; %bb.736:                              ;   in Loop: Header=BB3_3 Depth=1
	v_mov_b32_e32 v38, s15
	v_mov_b32_e32 v37, s14
	global_store_dwordx4 v[8:9], v[37:40], off offset:8
.LBB3_737:                              ;   in Loop: Header=BB3_3 Depth=1
	s_or_b64 exec, exec, s[16:17]
	v_mul_lo_u32 v2, v27, v25
	v_add_u32_e32 v11, v27, v25
	v_sub_u32_e32 v12, v25, v27
	v_mul_lo_u32 v11, v11, v12
	v_cvt_f32_u32_e32 v3, v2
	v_sub_u32_e32 v10, 0, v2
	s_lshl_b64 s[12:13], s[12:13], 12
	v_mov_b32_e32 v16, s13
	v_rcp_iflag_f32_e32 v3, v3
	s_mov_b32 s41, s40
	s_mov_b32 s42, s40
	;; [unrolled: 1-line block ×3, first 2 shown]
	v_mul_f32_e32 v3, 0x4f7ffffe, v3
	v_cvt_u32_f32_e32 v3, v3
	v_mov_b32_e32 v12, s40
	v_mov_b32_e32 v13, s41
	;; [unrolled: 1-line block ×3, first 2 shown]
	v_mul_lo_u32 v10, v10, v3
	v_mov_b32_e32 v15, s43
	v_and_or_b32 v0, v0, s48, 32
	v_mul_hi_u32 v10, v3, v10
	v_add_u32_e32 v3, v3, v10
	v_mul_hi_u32 v3, v11, v3
	v_mul_lo_u32 v10, v3, v2
	v_add_u32_e32 v17, 1, v3
	v_sub_u32_e32 v10, v11, v10
	v_cmp_ge_u32_e32 vcc, v10, v2
	v_sub_u32_e32 v11, v10, v2
	v_cndmask_b32_e32 v3, v3, v17, vcc
	v_cndmask_b32_e32 v10, v10, v11, vcc
	v_add_u32_e32 v11, 1, v3
	v_cmp_ge_u32_e32 vcc, v10, v2
	v_cndmask_b32_e32 v2, v3, v11, vcc
	v_cvt_f32_u32_e32 v2, v2
	v_add_co_u32_e32 v10, vcc, s12, v6
	v_addc_co_u32_e32 v11, vcc, v7, v16, vcc
	v_cvt_f64_f32_e32 v[2:3], v2
	v_readfirstlane_b32 s12, v10
	v_readfirstlane_b32 s13, v11
	s_nop 4
	global_store_dwordx4 v26, v[12:15], s[12:13] offset:16
	global_store_dwordx4 v26, v[12:15], s[12:13] offset:32
	global_store_dwordx4 v26, v[0:3], s[12:13]
	global_store_dwordx4 v26, v[12:15], s[12:13] offset:48
	s_and_saveexec_b64 s[12:13], s[4:5]
	s_cbranch_execz .LBB3_745
; %bb.738:                              ;   in Loop: Header=BB3_3 Depth=1
	global_load_dwordx2 v[14:15], v54, s[8:9] offset:32 glc
	global_load_dwordx2 v[0:1], v54, s[8:9] offset:40
	v_mov_b32_e32 v12, s10
	v_mov_b32_e32 v13, s11
	s_waitcnt vmcnt(0)
	v_readfirstlane_b32 s14, v0
	v_readfirstlane_b32 s15, v1
	s_and_b64 s[14:15], s[14:15], s[10:11]
	s_mul_i32 s15, s15, 24
	s_mul_hi_u32 s16, s14, 24
	s_mul_i32 s14, s14, 24
	s_add_i32 s15, s16, s15
	v_mov_b32_e32 v1, s15
	v_add_co_u32_e32 v0, vcc, s14, v4
	v_addc_co_u32_e32 v1, vcc, v5, v1, vcc
	global_store_dwordx2 v[0:1], v[14:15], off
	s_waitcnt vmcnt(0)
	global_atomic_cmpswap_x2 v[6:7], v54, v[12:15], s[8:9] offset:32 glc
	s_waitcnt vmcnt(0)
	v_cmp_ne_u64_e32 vcc, v[6:7], v[14:15]
	s_and_saveexec_b64 s[14:15], vcc
	s_cbranch_execz .LBB3_741
; %bb.739:                              ;   in Loop: Header=BB3_3 Depth=1
	s_mov_b64 s[16:17], 0
.LBB3_740:                              ;   Parent Loop BB3_3 Depth=1
                                        ; =>  This Inner Loop Header: Depth=2
	s_sleep 1
	global_store_dwordx2 v[0:1], v[6:7], off
	v_mov_b32_e32 v4, s10
	v_mov_b32_e32 v5, s11
	s_waitcnt vmcnt(0)
	global_atomic_cmpswap_x2 v[4:5], v54, v[4:7], s[8:9] offset:32 glc
	s_waitcnt vmcnt(0)
	v_cmp_eq_u64_e32 vcc, v[4:5], v[6:7]
	v_mov_b32_e32 v7, v5
	s_or_b64 s[16:17], vcc, s[16:17]
	v_mov_b32_e32 v6, v4
	s_andn2_b64 exec, exec, s[16:17]
	s_cbranch_execnz .LBB3_740
.LBB3_741:                              ;   in Loop: Header=BB3_3 Depth=1
	s_or_b64 exec, exec, s[14:15]
	global_load_dwordx2 v[0:1], v54, s[8:9] offset:16
	s_mov_b64 s[16:17], exec
	v_mbcnt_lo_u32_b32 v4, s16, 0
	v_mbcnt_hi_u32_b32 v4, s17, v4
	v_cmp_eq_u32_e32 vcc, 0, v4
	s_and_saveexec_b64 s[14:15], vcc
	s_cbranch_execz .LBB3_743
; %bb.742:                              ;   in Loop: Header=BB3_3 Depth=1
	s_bcnt1_i32_b64 s16, s[16:17]
	v_mov_b32_e32 v53, s16
	s_waitcnt vmcnt(0)
	global_atomic_add_x2 v[0:1], v[53:54], off offset:8
.LBB3_743:                              ;   in Loop: Header=BB3_3 Depth=1
	s_or_b64 exec, exec, s[14:15]
	s_waitcnt vmcnt(0)
	global_load_dwordx2 v[4:5], v[0:1], off offset:16
	s_waitcnt vmcnt(0)
	v_cmp_eq_u64_e32 vcc, 0, v[4:5]
	s_cbranch_vccnz .LBB3_745
; %bb.744:                              ;   in Loop: Header=BB3_3 Depth=1
	global_load_dword v53, v[0:1], off offset:24
	s_waitcnt vmcnt(0)
	v_readfirstlane_b32 s14, v53
	s_and_b32 m0, s14, 0xffffff
	global_store_dwordx2 v[4:5], v[53:54], off
	s_sendmsg sendmsg(MSG_INTERRUPT)
.LBB3_745:                              ;   in Loop: Header=BB3_3 Depth=1
	s_or_b64 exec, exec, s[12:13]
	v_add_co_u32_e32 v0, vcc, v10, v26
	v_addc_co_u32_e32 v1, vcc, 0, v11, vcc
	s_branch .LBB3_749
.LBB3_746:                              ;   in Loop: Header=BB3_749 Depth=2
	s_or_b64 exec, exec, s[12:13]
	v_readfirstlane_b32 s12, v4
	s_cmp_eq_u32 s12, 0
	s_cbranch_scc1 .LBB3_748
; %bb.747:                              ;   in Loop: Header=BB3_749 Depth=2
	s_sleep 1
	s_cbranch_execnz .LBB3_749
	s_branch .LBB3_751
.LBB3_748:                              ;   in Loop: Header=BB3_3 Depth=1
	s_branch .LBB3_751
.LBB3_749:                              ;   Parent Loop BB3_3 Depth=1
                                        ; =>  This Inner Loop Header: Depth=2
	v_mov_b32_e32 v4, 1
	s_and_saveexec_b64 s[12:13], s[4:5]
	s_cbranch_execz .LBB3_746
; %bb.750:                              ;   in Loop: Header=BB3_749 Depth=2
	global_load_dword v4, v[8:9], off offset:20 glc
	s_waitcnt vmcnt(0)
	buffer_wbinvl1_vol
	v_and_b32_e32 v4, 1, v4
	s_branch .LBB3_746
.LBB3_751:                              ;   in Loop: Header=BB3_3 Depth=1
	global_load_dwordx2 v[0:1], v[0:1], off
	s_and_saveexec_b64 s[12:13], s[4:5]
	s_cbranch_execz .LBB3_755
; %bb.752:                              ;   in Loop: Header=BB3_3 Depth=1
	global_load_dwordx2 v[4:5], v54, s[8:9] offset:40
	global_load_dwordx2 v[12:13], v54, s[8:9] offset:24 glc
	global_load_dwordx2 v[6:7], v54, s[8:9]
	s_waitcnt vmcnt(2)
	v_readfirstlane_b32 s14, v4
	v_readfirstlane_b32 s15, v5
	s_add_u32 s16, s14, 1
	s_addc_u32 s17, s15, 0
	s_add_u32 s4, s16, s10
	s_addc_u32 s5, s17, s11
	s_cmp_eq_u64 s[4:5], 0
	s_cselect_b32 s5, s17, s5
	s_cselect_b32 s4, s16, s4
	s_and_b64 s[10:11], s[4:5], s[14:15]
	s_mul_i32 s11, s11, 24
	s_mul_hi_u32 s14, s10, 24
	s_mul_i32 s10, s10, 24
	s_add_i32 s11, s14, s11
	v_mov_b32_e32 v4, s11
	s_waitcnt vmcnt(0)
	v_add_co_u32_e32 v8, vcc, s10, v6
	v_addc_co_u32_e32 v9, vcc, v7, v4, vcc
	v_mov_b32_e32 v10, s4
	global_store_dwordx2 v[8:9], v[12:13], off
	v_mov_b32_e32 v11, s5
	s_waitcnt vmcnt(0)
	global_atomic_cmpswap_x2 v[6:7], v54, v[10:13], s[8:9] offset:24 glc
	s_waitcnt vmcnt(0)
	v_cmp_ne_u64_e32 vcc, v[6:7], v[12:13]
	s_and_b64 exec, exec, vcc
	s_cbranch_execz .LBB3_755
; %bb.753:                              ;   in Loop: Header=BB3_3 Depth=1
	s_mov_b64 s[10:11], 0
.LBB3_754:                              ;   Parent Loop BB3_3 Depth=1
                                        ; =>  This Inner Loop Header: Depth=2
	s_sleep 1
	global_store_dwordx2 v[8:9], v[6:7], off
	v_mov_b32_e32 v4, s4
	v_mov_b32_e32 v5, s5
	s_waitcnt vmcnt(0)
	global_atomic_cmpswap_x2 v[4:5], v54, v[4:7], s[8:9] offset:24 glc
	s_waitcnt vmcnt(0)
	v_cmp_eq_u64_e32 vcc, v[4:5], v[6:7]
	v_mov_b32_e32 v7, v5
	s_or_b64 s[10:11], vcc, s[10:11]
	v_mov_b32_e32 v6, v4
	s_andn2_b64 exec, exec, s[10:11]
	s_cbranch_execnz .LBB3_754
.LBB3_755:                              ;   in Loop: Header=BB3_3 Depth=1
	s_or_b64 exec, exec, s[12:13]
	v_readfirstlane_b32 s4, v47
	v_mov_b32_e32 v8, 0
	v_mov_b32_e32 v9, 0
	v_cmp_eq_u32_e64 s[4:5], s4, v47
	s_and_saveexec_b64 s[10:11], s[4:5]
	s_cbranch_execz .LBB3_761
; %bb.756:                              ;   in Loop: Header=BB3_3 Depth=1
	global_load_dwordx2 v[6:7], v54, s[8:9] offset:24 glc
	s_waitcnt vmcnt(0)
	buffer_wbinvl1_vol
	global_load_dwordx2 v[4:5], v54, s[8:9] offset:40
	global_load_dwordx2 v[8:9], v54, s[8:9]
	s_waitcnt vmcnt(1)
	v_and_b32_e32 v4, v4, v6
	v_and_b32_e32 v5, v5, v7
	v_mul_lo_u32 v5, v5, 24
	v_mul_hi_u32 v10, v4, 24
	v_mul_lo_u32 v4, v4, 24
	v_add_u32_e32 v5, v10, v5
	s_waitcnt vmcnt(0)
	v_add_co_u32_e32 v4, vcc, v8, v4
	v_addc_co_u32_e32 v5, vcc, v9, v5, vcc
	global_load_dwordx2 v[4:5], v[4:5], off glc
	s_waitcnt vmcnt(0)
	global_atomic_cmpswap_x2 v[8:9], v54, v[4:7], s[8:9] offset:24 glc
	s_waitcnt vmcnt(0)
	buffer_wbinvl1_vol
	v_cmp_ne_u64_e32 vcc, v[8:9], v[6:7]
	s_and_saveexec_b64 s[12:13], vcc
	s_cbranch_execz .LBB3_760
; %bb.757:                              ;   in Loop: Header=BB3_3 Depth=1
	s_mov_b64 s[14:15], 0
.LBB3_758:                              ;   Parent Loop BB3_3 Depth=1
                                        ; =>  This Inner Loop Header: Depth=2
	s_sleep 1
	global_load_dwordx2 v[4:5], v54, s[8:9] offset:40
	global_load_dwordx2 v[10:11], v54, s[8:9]
	v_mov_b32_e32 v6, v8
	v_mov_b32_e32 v7, v9
	s_waitcnt vmcnt(1)
	v_and_b32_e32 v4, v4, v6
	s_waitcnt vmcnt(0)
	v_mad_u64_u32 v[8:9], s[16:17], v4, 24, v[10:11]
	v_and_b32_e32 v5, v5, v7
	v_mov_b32_e32 v4, v9
	v_mad_u64_u32 v[4:5], s[16:17], v5, 24, v[4:5]
	v_mov_b32_e32 v9, v4
	global_load_dwordx2 v[4:5], v[8:9], off glc
	s_waitcnt vmcnt(0)
	global_atomic_cmpswap_x2 v[8:9], v54, v[4:7], s[8:9] offset:24 glc
	s_waitcnt vmcnt(0)
	buffer_wbinvl1_vol
	v_cmp_eq_u64_e32 vcc, v[8:9], v[6:7]
	s_or_b64 s[14:15], vcc, s[14:15]
	s_andn2_b64 exec, exec, s[14:15]
	s_cbranch_execnz .LBB3_758
; %bb.759:                              ;   in Loop: Header=BB3_3 Depth=1
	s_or_b64 exec, exec, s[14:15]
.LBB3_760:                              ;   in Loop: Header=BB3_3 Depth=1
	s_or_b64 exec, exec, s[12:13]
.LBB3_761:                              ;   in Loop: Header=BB3_3 Depth=1
	s_or_b64 exec, exec, s[10:11]
	global_load_dwordx2 v[10:11], v54, s[8:9] offset:40
	global_load_dwordx4 v[4:7], v54, s[8:9]
	v_readfirstlane_b32 s11, v9
	v_readfirstlane_b32 s10, v8
	s_mov_b64 s[12:13], exec
	s_waitcnt vmcnt(1)
	v_readfirstlane_b32 s14, v10
	v_readfirstlane_b32 s15, v11
	s_and_b64 s[14:15], s[14:15], s[10:11]
	s_mul_i32 s16, s15, 24
	s_mul_hi_u32 s17, s14, 24
	s_mul_i32 s22, s14, 24
	s_add_i32 s16, s17, s16
	v_mov_b32_e32 v9, s16
	s_waitcnt vmcnt(0)
	v_add_co_u32_e32 v8, vcc, s22, v4
	v_addc_co_u32_e32 v9, vcc, v5, v9, vcc
	s_and_saveexec_b64 s[16:17], s[4:5]
	s_cbranch_execz .LBB3_763
; %bb.762:                              ;   in Loop: Header=BB3_3 Depth=1
	v_mov_b32_e32 v38, s13
	v_mov_b32_e32 v37, s12
	global_store_dwordx4 v[8:9], v[37:40], off offset:8
.LBB3_763:                              ;   in Loop: Header=BB3_3 Depth=1
	s_or_b64 exec, exec, s[16:17]
	s_lshl_b64 s[12:13], s[14:15], 12
	v_mov_b32_e32 v10, s13
	v_add_co_u32_e32 v6, vcc, s12, v6
	v_addc_co_u32_e32 v7, vcc, v7, v10, vcc
	v_and_or_b32 v0, v0, s49, 34
	v_readfirstlane_b32 s12, v6
	v_readfirstlane_b32 s13, v7
	s_mov_b32 s41, s40
	s_mov_b32 s42, s40
	;; [unrolled: 1-line block ×3, first 2 shown]
	s_nop 1
	global_store_dwordx4 v26, v[0:3], s[12:13]
	s_nop 0
	v_mov_b32_e32 v0, s40
	v_mov_b32_e32 v1, s41
	;; [unrolled: 1-line block ×4, first 2 shown]
	global_store_dwordx4 v26, v[0:3], s[12:13] offset:16
	global_store_dwordx4 v26, v[0:3], s[12:13] offset:32
	;; [unrolled: 1-line block ×3, first 2 shown]
	s_and_saveexec_b64 s[12:13], s[4:5]
	s_cbranch_execz .LBB3_771
; %bb.764:                              ;   in Loop: Header=BB3_3 Depth=1
	global_load_dwordx2 v[12:13], v54, s[8:9] offset:32 glc
	global_load_dwordx2 v[0:1], v54, s[8:9] offset:40
	v_mov_b32_e32 v10, s10
	v_mov_b32_e32 v11, s11
	s_waitcnt vmcnt(0)
	v_readfirstlane_b32 s14, v0
	v_readfirstlane_b32 s15, v1
	s_and_b64 s[14:15], s[14:15], s[10:11]
	s_mul_i32 s15, s15, 24
	s_mul_hi_u32 s16, s14, 24
	s_mul_i32 s14, s14, 24
	s_add_i32 s15, s16, s15
	v_mov_b32_e32 v0, s15
	v_add_co_u32_e32 v4, vcc, s14, v4
	v_addc_co_u32_e32 v5, vcc, v5, v0, vcc
	global_store_dwordx2 v[4:5], v[12:13], off
	s_waitcnt vmcnt(0)
	global_atomic_cmpswap_x2 v[2:3], v54, v[10:13], s[8:9] offset:32 glc
	s_waitcnt vmcnt(0)
	v_cmp_ne_u64_e32 vcc, v[2:3], v[12:13]
	s_and_saveexec_b64 s[14:15], vcc
	s_cbranch_execz .LBB3_767
; %bb.765:                              ;   in Loop: Header=BB3_3 Depth=1
	s_mov_b64 s[16:17], 0
.LBB3_766:                              ;   Parent Loop BB3_3 Depth=1
                                        ; =>  This Inner Loop Header: Depth=2
	s_sleep 1
	global_store_dwordx2 v[4:5], v[2:3], off
	v_mov_b32_e32 v0, s10
	v_mov_b32_e32 v1, s11
	s_waitcnt vmcnt(0)
	global_atomic_cmpswap_x2 v[0:1], v54, v[0:3], s[8:9] offset:32 glc
	s_waitcnt vmcnt(0)
	v_cmp_eq_u64_e32 vcc, v[0:1], v[2:3]
	v_mov_b32_e32 v3, v1
	s_or_b64 s[16:17], vcc, s[16:17]
	v_mov_b32_e32 v2, v0
	s_andn2_b64 exec, exec, s[16:17]
	s_cbranch_execnz .LBB3_766
.LBB3_767:                              ;   in Loop: Header=BB3_3 Depth=1
	s_or_b64 exec, exec, s[14:15]
	global_load_dwordx2 v[0:1], v54, s[8:9] offset:16
	s_mov_b64 s[16:17], exec
	v_mbcnt_lo_u32_b32 v2, s16, 0
	v_mbcnt_hi_u32_b32 v2, s17, v2
	v_cmp_eq_u32_e32 vcc, 0, v2
	s_and_saveexec_b64 s[14:15], vcc
	s_cbranch_execz .LBB3_769
; %bb.768:                              ;   in Loop: Header=BB3_3 Depth=1
	s_bcnt1_i32_b64 s16, s[16:17]
	v_mov_b32_e32 v53, s16
	s_waitcnt vmcnt(0)
	global_atomic_add_x2 v[0:1], v[53:54], off offset:8
.LBB3_769:                              ;   in Loop: Header=BB3_3 Depth=1
	s_or_b64 exec, exec, s[14:15]
	s_waitcnt vmcnt(0)
	global_load_dwordx2 v[2:3], v[0:1], off offset:16
	s_waitcnt vmcnt(0)
	v_cmp_eq_u64_e32 vcc, 0, v[2:3]
	s_cbranch_vccnz .LBB3_771
; %bb.770:                              ;   in Loop: Header=BB3_3 Depth=1
	global_load_dword v53, v[0:1], off offset:24
	s_waitcnt vmcnt(0)
	v_readfirstlane_b32 s14, v53
	s_and_b32 m0, s14, 0xffffff
	global_store_dwordx2 v[2:3], v[53:54], off
	s_sendmsg sendmsg(MSG_INTERRUPT)
.LBB3_771:                              ;   in Loop: Header=BB3_3 Depth=1
	s_or_b64 exec, exec, s[12:13]
	v_add_co_u32_e32 v0, vcc, v6, v26
	v_addc_co_u32_e32 v1, vcc, 0, v7, vcc
	s_branch .LBB3_775
.LBB3_772:                              ;   in Loop: Header=BB3_775 Depth=2
	s_or_b64 exec, exec, s[12:13]
	v_readfirstlane_b32 s12, v2
	s_cmp_eq_u32 s12, 0
	s_cbranch_scc1 .LBB3_774
; %bb.773:                              ;   in Loop: Header=BB3_775 Depth=2
	s_sleep 1
	s_cbranch_execnz .LBB3_775
	s_branch .LBB3_777
.LBB3_774:                              ;   in Loop: Header=BB3_3 Depth=1
	s_branch .LBB3_777
.LBB3_775:                              ;   Parent Loop BB3_3 Depth=1
                                        ; =>  This Inner Loop Header: Depth=2
	v_mov_b32_e32 v2, 1
	s_and_saveexec_b64 s[12:13], s[4:5]
	s_cbranch_execz .LBB3_772
; %bb.776:                              ;   in Loop: Header=BB3_775 Depth=2
	global_load_dword v2, v[8:9], off offset:20 glc
	s_waitcnt vmcnt(0)
	buffer_wbinvl1_vol
	v_and_b32_e32 v2, 1, v2
	s_branch .LBB3_772
.LBB3_777:                              ;   in Loop: Header=BB3_3 Depth=1
	global_load_dwordx2 v[0:1], v[0:1], off
	s_and_saveexec_b64 s[12:13], s[4:5]
	s_cbranch_execz .LBB3_781
; %bb.778:                              ;   in Loop: Header=BB3_3 Depth=1
	global_load_dwordx2 v[1:2], v54, s[8:9] offset:40
	global_load_dwordx2 v[9:10], v54, s[8:9] offset:24 glc
	global_load_dwordx2 v[3:4], v54, s[8:9]
	s_waitcnt vmcnt(2)
	v_readfirstlane_b32 s14, v1
	v_readfirstlane_b32 s15, v2
	s_add_u32 s16, s14, 1
	s_addc_u32 s17, s15, 0
	s_add_u32 s4, s16, s10
	s_addc_u32 s5, s17, s11
	s_cmp_eq_u64 s[4:5], 0
	s_cselect_b32 s5, s17, s5
	s_cselect_b32 s4, s16, s4
	s_and_b64 s[10:11], s[4:5], s[14:15]
	s_mul_i32 s11, s11, 24
	s_mul_hi_u32 s14, s10, 24
	s_mul_i32 s10, s10, 24
	s_add_i32 s11, s14, s11
	v_mov_b32_e32 v1, s11
	s_waitcnt vmcnt(0)
	v_add_co_u32_e32 v5, vcc, s10, v3
	v_addc_co_u32_e32 v6, vcc, v4, v1, vcc
	v_mov_b32_e32 v7, s4
	global_store_dwordx2 v[5:6], v[9:10], off
	v_mov_b32_e32 v8, s5
	s_waitcnt vmcnt(0)
	global_atomic_cmpswap_x2 v[3:4], v54, v[7:10], s[8:9] offset:24 glc
	s_waitcnt vmcnt(0)
	v_cmp_ne_u64_e32 vcc, v[3:4], v[9:10]
	s_and_b64 exec, exec, vcc
	s_cbranch_execz .LBB3_781
; %bb.779:                              ;   in Loop: Header=BB3_3 Depth=1
	s_mov_b64 s[10:11], 0
.LBB3_780:                              ;   Parent Loop BB3_3 Depth=1
                                        ; =>  This Inner Loop Header: Depth=2
	s_sleep 1
	global_store_dwordx2 v[5:6], v[3:4], off
	v_mov_b32_e32 v1, s4
	v_mov_b32_e32 v2, s5
	s_waitcnt vmcnt(0)
	global_atomic_cmpswap_x2 v[1:2], v54, v[1:4], s[8:9] offset:24 glc
	s_waitcnt vmcnt(0)
	v_cmp_eq_u64_e32 vcc, v[1:2], v[3:4]
	v_mov_b32_e32 v4, v2
	s_or_b64 s[10:11], vcc, s[10:11]
	v_mov_b32_e32 v3, v1
	s_andn2_b64 exec, exec, s[10:11]
	s_cbranch_execnz .LBB3_780
.LBB3_781:                              ;   in Loop: Header=BB3_3 Depth=1
	s_or_b64 exec, exec, s[12:13]
	s_or_b64 exec, exec, s[6:7]
                                        ; implicit-def: $vgpr25
	s_andn2_saveexec_b64 s[6:7], s[20:21]
	s_cbranch_execnz .LBB3_198
	s_branch .LBB3_532
.LBB3_782:                              ;   in Loop: Header=BB3_3 Depth=1
                                        ; implicit-def: $vgpr2_vgpr3
	s_cbranch_execz .LBB3_810
; %bb.783:                              ;   in Loop: Header=BB3_3 Depth=1
	v_readfirstlane_b32 s4, v47
	s_waitcnt vmcnt(0)
	v_mov_b32_e32 v2, 0
	v_mov_b32_e32 v3, 0
	v_cmp_eq_u32_e64 s[4:5], s4, v47
	s_and_saveexec_b64 s[14:15], s[4:5]
	s_cbranch_execz .LBB3_789
; %bb.784:                              ;   in Loop: Header=BB3_3 Depth=1
	global_load_dwordx2 v[4:5], v54, s[12:13] offset:24 glc
	s_waitcnt vmcnt(0)
	buffer_wbinvl1_vol
	global_load_dwordx2 v[2:3], v54, s[12:13] offset:40
	global_load_dwordx2 v[6:7], v54, s[12:13]
	s_waitcnt vmcnt(1)
	v_and_b32_e32 v2, v2, v4
	v_and_b32_e32 v3, v3, v5
	v_mul_lo_u32 v3, v3, 24
	v_mul_hi_u32 v8, v2, 24
	v_mul_lo_u32 v2, v2, 24
	v_add_u32_e32 v3, v8, v3
	s_waitcnt vmcnt(0)
	v_add_co_u32_e32 v2, vcc, v6, v2
	v_addc_co_u32_e32 v3, vcc, v7, v3, vcc
	global_load_dwordx2 v[2:3], v[2:3], off glc
	s_waitcnt vmcnt(0)
	global_atomic_cmpswap_x2 v[2:3], v54, v[2:5], s[12:13] offset:24 glc
	s_waitcnt vmcnt(0)
	buffer_wbinvl1_vol
	v_cmp_ne_u64_e32 vcc, v[2:3], v[4:5]
	s_and_saveexec_b64 s[16:17], vcc
	s_cbranch_execz .LBB3_788
; %bb.785:                              ;   in Loop: Header=BB3_3 Depth=1
	s_mov_b64 s[18:19], 0
.LBB3_786:                              ;   Parent Loop BB3_3 Depth=1
                                        ; =>  This Inner Loop Header: Depth=2
	s_sleep 1
	global_load_dwordx2 v[6:7], v54, s[12:13] offset:40
	global_load_dwordx2 v[8:9], v54, s[12:13]
	v_mov_b32_e32 v5, v3
	v_mov_b32_e32 v4, v2
	s_waitcnt vmcnt(1)
	v_and_b32_e32 v2, v6, v4
	s_waitcnt vmcnt(0)
	v_mad_u64_u32 v[2:3], s[20:21], v2, 24, v[8:9]
	v_and_b32_e32 v6, v7, v5
	v_mad_u64_u32 v[6:7], s[20:21], v6, 24, v[3:4]
	v_mov_b32_e32 v3, v6
	global_load_dwordx2 v[2:3], v[2:3], off glc
	s_waitcnt vmcnt(0)
	global_atomic_cmpswap_x2 v[2:3], v54, v[2:5], s[12:13] offset:24 glc
	s_waitcnt vmcnt(0)
	buffer_wbinvl1_vol
	v_cmp_eq_u64_e32 vcc, v[2:3], v[4:5]
	s_or_b64 s[18:19], vcc, s[18:19]
	s_andn2_b64 exec, exec, s[18:19]
	s_cbranch_execnz .LBB3_786
; %bb.787:                              ;   in Loop: Header=BB3_3 Depth=1
	s_or_b64 exec, exec, s[18:19]
.LBB3_788:                              ;   in Loop: Header=BB3_3 Depth=1
	s_or_b64 exec, exec, s[16:17]
.LBB3_789:                              ;   in Loop: Header=BB3_3 Depth=1
	s_or_b64 exec, exec, s[14:15]
	global_load_dwordx2 v[8:9], v54, s[12:13] offset:40
	global_load_dwordx4 v[4:7], v54, s[12:13]
	v_readfirstlane_b32 s15, v3
	v_readfirstlane_b32 s14, v2
	s_mov_b64 s[16:17], exec
	s_waitcnt vmcnt(1)
	v_readfirstlane_b32 s18, v8
	v_readfirstlane_b32 s19, v9
	s_and_b64 s[18:19], s[18:19], s[14:15]
	s_mul_i32 s20, s19, 24
	s_mul_hi_u32 s21, s18, 24
	s_mul_i32 s22, s18, 24
	s_add_i32 s20, s21, s20
	v_mov_b32_e32 v2, s20
	s_waitcnt vmcnt(0)
	v_add_co_u32_e32 v8, vcc, s22, v4
	v_addc_co_u32_e32 v9, vcc, v5, v2, vcc
	s_and_saveexec_b64 s[20:21], s[4:5]
	s_cbranch_execz .LBB3_791
; %bb.790:                              ;   in Loop: Header=BB3_3 Depth=1
	v_mov_b32_e32 v38, s17
	v_mov_b32_e32 v37, s16
	global_store_dwordx4 v[8:9], v[37:40], off offset:8
.LBB3_791:                              ;   in Loop: Header=BB3_3 Depth=1
	s_or_b64 exec, exec, s[20:21]
	s_lshl_b64 s[16:17], s[18:19], 12
	v_mov_b32_e32 v2, s17
	v_add_co_u32_e32 v6, vcc, s16, v6
	v_addc_co_u32_e32 v7, vcc, v7, v2, vcc
	v_and_or_b32 v0, v0, s48, 32
	v_mov_b32_e32 v2, v54
	v_mov_b32_e32 v3, v54
	v_readfirstlane_b32 s16, v6
	v_readfirstlane_b32 s17, v7
	s_mov_b32 s41, s40
	s_mov_b32 s42, s40
	;; [unrolled: 1-line block ×3, first 2 shown]
	s_nop 1
	global_store_dwordx4 v26, v[0:3], s[16:17]
	s_nop 0
	v_mov_b32_e32 v0, s40
	v_mov_b32_e32 v1, s41
	;; [unrolled: 1-line block ×4, first 2 shown]
	global_store_dwordx4 v26, v[0:3], s[16:17] offset:16
	global_store_dwordx4 v26, v[0:3], s[16:17] offset:32
	global_store_dwordx4 v26, v[0:3], s[16:17] offset:48
	s_and_saveexec_b64 s[16:17], s[4:5]
	s_cbranch_execz .LBB3_799
; %bb.792:                              ;   in Loop: Header=BB3_3 Depth=1
	global_load_dwordx2 v[12:13], v54, s[12:13] offset:32 glc
	global_load_dwordx2 v[0:1], v54, s[12:13] offset:40
	v_mov_b32_e32 v10, s14
	v_mov_b32_e32 v11, s15
	s_waitcnt vmcnt(0)
	v_readfirstlane_b32 s18, v0
	v_readfirstlane_b32 s19, v1
	s_and_b64 s[18:19], s[18:19], s[14:15]
	s_mul_i32 s19, s19, 24
	s_mul_hi_u32 s20, s18, 24
	s_mul_i32 s18, s18, 24
	s_add_i32 s19, s20, s19
	v_mov_b32_e32 v0, s19
	v_add_co_u32_e32 v4, vcc, s18, v4
	v_addc_co_u32_e32 v5, vcc, v5, v0, vcc
	global_store_dwordx2 v[4:5], v[12:13], off
	s_waitcnt vmcnt(0)
	global_atomic_cmpswap_x2 v[2:3], v54, v[10:13], s[12:13] offset:32 glc
	s_waitcnt vmcnt(0)
	v_cmp_ne_u64_e32 vcc, v[2:3], v[12:13]
	s_and_saveexec_b64 s[18:19], vcc
	s_cbranch_execz .LBB3_795
; %bb.793:                              ;   in Loop: Header=BB3_3 Depth=1
	s_mov_b64 s[20:21], 0
.LBB3_794:                              ;   Parent Loop BB3_3 Depth=1
                                        ; =>  This Inner Loop Header: Depth=2
	s_sleep 1
	global_store_dwordx2 v[4:5], v[2:3], off
	v_mov_b32_e32 v0, s14
	v_mov_b32_e32 v1, s15
	s_waitcnt vmcnt(0)
	global_atomic_cmpswap_x2 v[0:1], v54, v[0:3], s[12:13] offset:32 glc
	s_waitcnt vmcnt(0)
	v_cmp_eq_u64_e32 vcc, v[0:1], v[2:3]
	v_mov_b32_e32 v3, v1
	s_or_b64 s[20:21], vcc, s[20:21]
	v_mov_b32_e32 v2, v0
	s_andn2_b64 exec, exec, s[20:21]
	s_cbranch_execnz .LBB3_794
.LBB3_795:                              ;   in Loop: Header=BB3_3 Depth=1
	s_or_b64 exec, exec, s[18:19]
	global_load_dwordx2 v[0:1], v54, s[12:13] offset:16
	s_mov_b64 s[20:21], exec
	v_mbcnt_lo_u32_b32 v2, s20, 0
	v_mbcnt_hi_u32_b32 v2, s21, v2
	v_cmp_eq_u32_e32 vcc, 0, v2
	s_and_saveexec_b64 s[18:19], vcc
	s_cbranch_execz .LBB3_797
; %bb.796:                              ;   in Loop: Header=BB3_3 Depth=1
	s_bcnt1_i32_b64 s20, s[20:21]
	v_mov_b32_e32 v53, s20
	s_waitcnt vmcnt(0)
	global_atomic_add_x2 v[0:1], v[53:54], off offset:8
.LBB3_797:                              ;   in Loop: Header=BB3_3 Depth=1
	s_or_b64 exec, exec, s[18:19]
	s_waitcnt vmcnt(0)
	global_load_dwordx2 v[2:3], v[0:1], off offset:16
	s_waitcnt vmcnt(0)
	v_cmp_eq_u64_e32 vcc, 0, v[2:3]
	s_cbranch_vccnz .LBB3_799
; %bb.798:                              ;   in Loop: Header=BB3_3 Depth=1
	global_load_dword v53, v[0:1], off offset:24
	s_waitcnt vmcnt(0)
	v_readfirstlane_b32 s18, v53
	s_and_b32 m0, s18, 0xffffff
	global_store_dwordx2 v[2:3], v[53:54], off
	s_sendmsg sendmsg(MSG_INTERRUPT)
.LBB3_799:                              ;   in Loop: Header=BB3_3 Depth=1
	s_or_b64 exec, exec, s[16:17]
	v_add_co_u32_e32 v0, vcc, v6, v26
	v_addc_co_u32_e32 v1, vcc, 0, v7, vcc
	s_branch .LBB3_803
.LBB3_800:                              ;   in Loop: Header=BB3_803 Depth=2
	s_or_b64 exec, exec, s[16:17]
	v_readfirstlane_b32 s16, v2
	s_cmp_eq_u32 s16, 0
	s_cbranch_scc1 .LBB3_802
; %bb.801:                              ;   in Loop: Header=BB3_803 Depth=2
	s_sleep 1
	s_cbranch_execnz .LBB3_803
	s_branch .LBB3_805
.LBB3_802:                              ;   in Loop: Header=BB3_3 Depth=1
	s_branch .LBB3_805
.LBB3_803:                              ;   Parent Loop BB3_3 Depth=1
                                        ; =>  This Inner Loop Header: Depth=2
	v_mov_b32_e32 v2, 1
	s_and_saveexec_b64 s[16:17], s[4:5]
	s_cbranch_execz .LBB3_800
; %bb.804:                              ;   in Loop: Header=BB3_803 Depth=2
	global_load_dword v2, v[8:9], off offset:20 glc
	s_waitcnt vmcnt(0)
	buffer_wbinvl1_vol
	v_and_b32_e32 v2, 1, v2
	s_branch .LBB3_800
.LBB3_805:                              ;   in Loop: Header=BB3_3 Depth=1
	global_load_dwordx2 v[2:3], v[0:1], off
	s_and_saveexec_b64 s[16:17], s[4:5]
	s_cbranch_execz .LBB3_809
; %bb.806:                              ;   in Loop: Header=BB3_3 Depth=1
	global_load_dwordx2 v[0:1], v54, s[12:13] offset:40
	global_load_dwordx2 v[8:9], v54, s[12:13] offset:24 glc
	global_load_dwordx2 v[4:5], v54, s[12:13]
	s_waitcnt vmcnt(2)
	v_readfirstlane_b32 s18, v0
	v_readfirstlane_b32 s19, v1
	s_add_u32 s20, s18, 1
	s_addc_u32 s21, s19, 0
	s_add_u32 s4, s20, s14
	s_addc_u32 s5, s21, s15
	s_cmp_eq_u64 s[4:5], 0
	s_cselect_b32 s5, s21, s5
	s_cselect_b32 s4, s20, s4
	s_and_b64 s[14:15], s[4:5], s[18:19]
	s_mul_i32 s15, s15, 24
	s_mul_hi_u32 s18, s14, 24
	s_mul_i32 s14, s14, 24
	s_add_i32 s15, s18, s15
	v_mov_b32_e32 v1, s15
	s_waitcnt vmcnt(0)
	v_add_co_u32_e32 v0, vcc, s14, v4
	v_addc_co_u32_e32 v1, vcc, v5, v1, vcc
	v_mov_b32_e32 v6, s4
	global_store_dwordx2 v[0:1], v[8:9], off
	v_mov_b32_e32 v7, s5
	s_waitcnt vmcnt(0)
	global_atomic_cmpswap_x2 v[6:7], v54, v[6:9], s[12:13] offset:24 glc
	s_waitcnt vmcnt(0)
	v_cmp_ne_u64_e32 vcc, v[6:7], v[8:9]
	s_and_b64 exec, exec, vcc
	s_cbranch_execz .LBB3_809
; %bb.807:                              ;   in Loop: Header=BB3_3 Depth=1
	s_mov_b64 s[14:15], 0
.LBB3_808:                              ;   Parent Loop BB3_3 Depth=1
                                        ; =>  This Inner Loop Header: Depth=2
	s_sleep 1
	global_store_dwordx2 v[0:1], v[6:7], off
	v_mov_b32_e32 v4, s4
	v_mov_b32_e32 v5, s5
	s_waitcnt vmcnt(0)
	global_atomic_cmpswap_x2 v[4:5], v54, v[4:7], s[12:13] offset:24 glc
	s_waitcnt vmcnt(0)
	v_cmp_eq_u64_e32 vcc, v[4:5], v[6:7]
	v_mov_b32_e32 v7, v5
	s_or_b64 s[14:15], vcc, s[14:15]
	v_mov_b32_e32 v6, v4
	s_andn2_b64 exec, exec, s[14:15]
	s_cbranch_execnz .LBB3_808
.LBB3_809:                              ;   in Loop: Header=BB3_3 Depth=1
	s_or_b64 exec, exec, s[16:17]
.LBB3_810:                              ;   in Loop: Header=BB3_3 Depth=1
	v_readfirstlane_b32 s4, v47
	s_waitcnt vmcnt(0)
	v_mov_b32_e32 v0, 0
	v_mov_b32_e32 v1, 0
	v_cmp_eq_u32_e64 s[4:5], s4, v47
	s_and_saveexec_b64 s[14:15], s[4:5]
	s_cbranch_execz .LBB3_816
; %bb.811:                              ;   in Loop: Header=BB3_3 Depth=1
	global_load_dwordx2 v[6:7], v54, s[12:13] offset:24 glc
	s_waitcnt vmcnt(0)
	buffer_wbinvl1_vol
	global_load_dwordx2 v[0:1], v54, s[12:13] offset:40
	global_load_dwordx2 v[4:5], v54, s[12:13]
	s_waitcnt vmcnt(1)
	v_and_b32_e32 v0, v0, v6
	v_and_b32_e32 v1, v1, v7
	v_mul_lo_u32 v1, v1, 24
	v_mul_hi_u32 v8, v0, 24
	v_mul_lo_u32 v0, v0, 24
	v_add_u32_e32 v1, v8, v1
	s_waitcnt vmcnt(0)
	v_add_co_u32_e32 v0, vcc, v4, v0
	v_addc_co_u32_e32 v1, vcc, v5, v1, vcc
	global_load_dwordx2 v[4:5], v[0:1], off glc
	s_waitcnt vmcnt(0)
	global_atomic_cmpswap_x2 v[0:1], v54, v[4:7], s[12:13] offset:24 glc
	s_waitcnt vmcnt(0)
	buffer_wbinvl1_vol
	v_cmp_ne_u64_e32 vcc, v[0:1], v[6:7]
	s_and_saveexec_b64 s[16:17], vcc
	s_cbranch_execz .LBB3_815
; %bb.812:                              ;   in Loop: Header=BB3_3 Depth=1
	s_mov_b64 s[18:19], 0
.LBB3_813:                              ;   Parent Loop BB3_3 Depth=1
                                        ; =>  This Inner Loop Header: Depth=2
	s_sleep 1
	global_load_dwordx2 v[4:5], v54, s[12:13] offset:40
	global_load_dwordx2 v[8:9], v54, s[12:13]
	v_mov_b32_e32 v7, v1
	v_mov_b32_e32 v6, v0
	s_waitcnt vmcnt(1)
	v_and_b32_e32 v0, v4, v6
	s_waitcnt vmcnt(0)
	v_mad_u64_u32 v[0:1], s[20:21], v0, 24, v[8:9]
	v_and_b32_e32 v4, v5, v7
	v_mad_u64_u32 v[4:5], s[20:21], v4, 24, v[1:2]
	v_mov_b32_e32 v1, v4
	global_load_dwordx2 v[4:5], v[0:1], off glc
	s_waitcnt vmcnt(0)
	global_atomic_cmpswap_x2 v[0:1], v54, v[4:7], s[12:13] offset:24 glc
	s_waitcnt vmcnt(0)
	buffer_wbinvl1_vol
	v_cmp_eq_u64_e32 vcc, v[0:1], v[6:7]
	s_or_b64 s[18:19], vcc, s[18:19]
	s_andn2_b64 exec, exec, s[18:19]
	s_cbranch_execnz .LBB3_813
; %bb.814:                              ;   in Loop: Header=BB3_3 Depth=1
	s_or_b64 exec, exec, s[18:19]
.LBB3_815:                              ;   in Loop: Header=BB3_3 Depth=1
	s_or_b64 exec, exec, s[16:17]
.LBB3_816:                              ;   in Loop: Header=BB3_3 Depth=1
	s_or_b64 exec, exec, s[14:15]
	global_load_dwordx2 v[4:5], v54, s[12:13] offset:40
	global_load_dwordx4 v[6:9], v54, s[12:13]
	v_readfirstlane_b32 s15, v1
	v_readfirstlane_b32 s14, v0
	s_mov_b64 s[16:17], exec
	s_waitcnt vmcnt(1)
	v_readfirstlane_b32 s18, v4
	v_readfirstlane_b32 s19, v5
	s_and_b64 s[18:19], s[18:19], s[14:15]
	s_mul_i32 s20, s19, 24
	s_mul_hi_u32 s21, s18, 24
	s_mul_i32 s22, s18, 24
	s_add_i32 s20, s21, s20
	v_mov_b32_e32 v0, s20
	s_waitcnt vmcnt(0)
	v_add_co_u32_e32 v10, vcc, s22, v6
	v_addc_co_u32_e32 v11, vcc, v7, v0, vcc
	s_and_saveexec_b64 s[20:21], s[4:5]
	s_cbranch_execz .LBB3_818
; %bb.817:                              ;   in Loop: Header=BB3_3 Depth=1
	v_mov_b32_e32 v38, s17
	v_mov_b32_e32 v37, s16
	global_store_dwordx4 v[10:11], v[37:40], off offset:8
.LBB3_818:                              ;   in Loop: Header=BB3_3 Depth=1
	s_or_b64 exec, exec, s[20:21]
	s_lshl_b64 s[16:17], s[18:19], 12
	v_mov_b32_e32 v0, s17
	v_add_co_u32_e32 v8, vcc, s16, v8
	v_addc_co_u32_e32 v9, vcc, v9, v0, vcc
	v_and_or_b32 v2, v2, s48, 32
	v_mov_b32_e32 v4, v50
	v_mov_b32_e32 v5, v51
	v_readfirstlane_b32 s16, v8
	v_readfirstlane_b32 s17, v9
	s_mov_b32 s41, s40
	s_mov_b32 s42, s40
	;; [unrolled: 1-line block ×3, first 2 shown]
	s_nop 1
	global_store_dwordx4 v26, v[2:5], s[16:17]
	v_mov_b32_e32 v0, s40
	v_mov_b32_e32 v1, s41
	;; [unrolled: 1-line block ×4, first 2 shown]
	global_store_dwordx4 v26, v[0:3], s[16:17] offset:16
	global_store_dwordx4 v26, v[0:3], s[16:17] offset:32
	;; [unrolled: 1-line block ×3, first 2 shown]
	s_and_saveexec_b64 s[16:17], s[4:5]
	s_cbranch_execz .LBB3_826
; %bb.819:                              ;   in Loop: Header=BB3_3 Depth=1
	global_load_dwordx2 v[14:15], v54, s[12:13] offset:32 glc
	global_load_dwordx2 v[0:1], v54, s[12:13] offset:40
	v_mov_b32_e32 v12, s14
	v_mov_b32_e32 v13, s15
	s_waitcnt vmcnt(0)
	v_readfirstlane_b32 s18, v0
	v_readfirstlane_b32 s19, v1
	s_and_b64 s[18:19], s[18:19], s[14:15]
	s_mul_i32 s19, s19, 24
	s_mul_hi_u32 s20, s18, 24
	s_mul_i32 s18, s18, 24
	s_add_i32 s19, s20, s19
	v_mov_b32_e32 v0, s19
	v_add_co_u32_e32 v4, vcc, s18, v6
	v_addc_co_u32_e32 v5, vcc, v7, v0, vcc
	global_store_dwordx2 v[4:5], v[14:15], off
	s_waitcnt vmcnt(0)
	global_atomic_cmpswap_x2 v[2:3], v54, v[12:15], s[12:13] offset:32 glc
	s_waitcnt vmcnt(0)
	v_cmp_ne_u64_e32 vcc, v[2:3], v[14:15]
	s_and_saveexec_b64 s[18:19], vcc
	s_cbranch_execz .LBB3_822
; %bb.820:                              ;   in Loop: Header=BB3_3 Depth=1
	s_mov_b64 s[20:21], 0
.LBB3_821:                              ;   Parent Loop BB3_3 Depth=1
                                        ; =>  This Inner Loop Header: Depth=2
	s_sleep 1
	global_store_dwordx2 v[4:5], v[2:3], off
	v_mov_b32_e32 v0, s14
	v_mov_b32_e32 v1, s15
	s_waitcnt vmcnt(0)
	global_atomic_cmpswap_x2 v[0:1], v54, v[0:3], s[12:13] offset:32 glc
	s_waitcnt vmcnt(0)
	v_cmp_eq_u64_e32 vcc, v[0:1], v[2:3]
	v_mov_b32_e32 v3, v1
	s_or_b64 s[20:21], vcc, s[20:21]
	v_mov_b32_e32 v2, v0
	s_andn2_b64 exec, exec, s[20:21]
	s_cbranch_execnz .LBB3_821
.LBB3_822:                              ;   in Loop: Header=BB3_3 Depth=1
	s_or_b64 exec, exec, s[18:19]
	global_load_dwordx2 v[0:1], v54, s[12:13] offset:16
	s_mov_b64 s[20:21], exec
	v_mbcnt_lo_u32_b32 v2, s20, 0
	v_mbcnt_hi_u32_b32 v2, s21, v2
	v_cmp_eq_u32_e32 vcc, 0, v2
	s_and_saveexec_b64 s[18:19], vcc
	s_cbranch_execz .LBB3_824
; %bb.823:                              ;   in Loop: Header=BB3_3 Depth=1
	s_bcnt1_i32_b64 s20, s[20:21]
	v_mov_b32_e32 v53, s20
	s_waitcnt vmcnt(0)
	global_atomic_add_x2 v[0:1], v[53:54], off offset:8
.LBB3_824:                              ;   in Loop: Header=BB3_3 Depth=1
	s_or_b64 exec, exec, s[18:19]
	s_waitcnt vmcnt(0)
	global_load_dwordx2 v[2:3], v[0:1], off offset:16
	s_waitcnt vmcnt(0)
	v_cmp_eq_u64_e32 vcc, 0, v[2:3]
	s_cbranch_vccnz .LBB3_826
; %bb.825:                              ;   in Loop: Header=BB3_3 Depth=1
	global_load_dword v53, v[0:1], off offset:24
	s_waitcnt vmcnt(0)
	v_readfirstlane_b32 s18, v53
	s_and_b32 m0, s18, 0xffffff
	global_store_dwordx2 v[2:3], v[53:54], off
	s_sendmsg sendmsg(MSG_INTERRUPT)
.LBB3_826:                              ;   in Loop: Header=BB3_3 Depth=1
	s_or_b64 exec, exec, s[16:17]
	v_add_co_u32_e32 v0, vcc, v8, v26
	v_addc_co_u32_e32 v1, vcc, 0, v9, vcc
	s_branch .LBB3_830
.LBB3_827:                              ;   in Loop: Header=BB3_830 Depth=2
	s_or_b64 exec, exec, s[16:17]
	v_readfirstlane_b32 s16, v2
	s_cmp_eq_u32 s16, 0
	s_cbranch_scc1 .LBB3_829
; %bb.828:                              ;   in Loop: Header=BB3_830 Depth=2
	s_sleep 1
	s_cbranch_execnz .LBB3_830
	s_branch .LBB3_832
.LBB3_829:                              ;   in Loop: Header=BB3_3 Depth=1
	s_branch .LBB3_832
.LBB3_830:                              ;   Parent Loop BB3_3 Depth=1
                                        ; =>  This Inner Loop Header: Depth=2
	v_mov_b32_e32 v2, 1
	s_and_saveexec_b64 s[16:17], s[4:5]
	s_cbranch_execz .LBB3_827
; %bb.831:                              ;   in Loop: Header=BB3_830 Depth=2
	global_load_dword v2, v[10:11], off offset:20 glc
	s_waitcnt vmcnt(0)
	buffer_wbinvl1_vol
	v_and_b32_e32 v2, 1, v2
	s_branch .LBB3_827
.LBB3_832:                              ;   in Loop: Header=BB3_3 Depth=1
	global_load_dwordx2 v[0:1], v[0:1], off
	s_and_saveexec_b64 s[16:17], s[4:5]
	s_cbranch_execz .LBB3_836
; %bb.833:                              ;   in Loop: Header=BB3_3 Depth=1
	global_load_dwordx2 v[2:3], v54, s[12:13] offset:40
	global_load_dwordx2 v[10:11], v54, s[12:13] offset:24 glc
	global_load_dwordx2 v[4:5], v54, s[12:13]
	s_waitcnt vmcnt(2)
	v_readfirstlane_b32 s18, v2
	v_readfirstlane_b32 s19, v3
	s_add_u32 s20, s18, 1
	s_addc_u32 s21, s19, 0
	s_add_u32 s4, s20, s14
	s_addc_u32 s5, s21, s15
	s_cmp_eq_u64 s[4:5], 0
	s_cselect_b32 s5, s21, s5
	s_cselect_b32 s4, s20, s4
	s_and_b64 s[14:15], s[4:5], s[18:19]
	s_mul_i32 s15, s15, 24
	s_mul_hi_u32 s18, s14, 24
	s_mul_i32 s14, s14, 24
	s_add_i32 s15, s18, s15
	v_mov_b32_e32 v2, s15
	s_waitcnt vmcnt(0)
	v_add_co_u32_e32 v6, vcc, s14, v4
	v_addc_co_u32_e32 v7, vcc, v5, v2, vcc
	v_mov_b32_e32 v8, s4
	global_store_dwordx2 v[6:7], v[10:11], off
	v_mov_b32_e32 v9, s5
	s_waitcnt vmcnt(0)
	global_atomic_cmpswap_x2 v[4:5], v54, v[8:11], s[12:13] offset:24 glc
	s_waitcnt vmcnt(0)
	v_cmp_ne_u64_e32 vcc, v[4:5], v[10:11]
	s_and_b64 exec, exec, vcc
	s_cbranch_execz .LBB3_836
; %bb.834:                              ;   in Loop: Header=BB3_3 Depth=1
	s_mov_b64 s[14:15], 0
.LBB3_835:                              ;   Parent Loop BB3_3 Depth=1
                                        ; =>  This Inner Loop Header: Depth=2
	s_sleep 1
	global_store_dwordx2 v[6:7], v[4:5], off
	v_mov_b32_e32 v2, s4
	v_mov_b32_e32 v3, s5
	s_waitcnt vmcnt(0)
	global_atomic_cmpswap_x2 v[2:3], v54, v[2:5], s[12:13] offset:24 glc
	s_waitcnt vmcnt(0)
	v_cmp_eq_u64_e32 vcc, v[2:3], v[4:5]
	v_mov_b32_e32 v5, v3
	s_or_b64 s[14:15], vcc, s[14:15]
	v_mov_b32_e32 v4, v2
	s_andn2_b64 exec, exec, s[14:15]
	s_cbranch_execnz .LBB3_835
.LBB3_836:                              ;   in Loop: Header=BB3_3 Depth=1
	s_or_b64 exec, exec, s[16:17]
	v_readfirstlane_b32 s4, v47
	v_mov_b32_e32 v2, 0
	v_mov_b32_e32 v3, 0
	v_cmp_eq_u32_e64 s[4:5], s4, v47
	s_and_saveexec_b64 s[14:15], s[4:5]
	s_cbranch_execz .LBB3_842
; %bb.837:                              ;   in Loop: Header=BB3_3 Depth=1
	global_load_dwordx2 v[4:5], v54, s[12:13] offset:24 glc
	s_waitcnt vmcnt(0)
	buffer_wbinvl1_vol
	global_load_dwordx2 v[2:3], v54, s[12:13] offset:40
	global_load_dwordx2 v[6:7], v54, s[12:13]
	s_waitcnt vmcnt(1)
	v_and_b32_e32 v2, v2, v4
	v_and_b32_e32 v3, v3, v5
	v_mul_lo_u32 v3, v3, 24
	v_mul_hi_u32 v8, v2, 24
	v_mul_lo_u32 v2, v2, 24
	v_add_u32_e32 v3, v8, v3
	s_waitcnt vmcnt(0)
	v_add_co_u32_e32 v2, vcc, v6, v2
	v_addc_co_u32_e32 v3, vcc, v7, v3, vcc
	global_load_dwordx2 v[2:3], v[2:3], off glc
	s_waitcnt vmcnt(0)
	global_atomic_cmpswap_x2 v[2:3], v54, v[2:5], s[12:13] offset:24 glc
	s_waitcnt vmcnt(0)
	buffer_wbinvl1_vol
	v_cmp_ne_u64_e32 vcc, v[2:3], v[4:5]
	s_and_saveexec_b64 s[16:17], vcc
	s_cbranch_execz .LBB3_841
; %bb.838:                              ;   in Loop: Header=BB3_3 Depth=1
	s_mov_b64 s[18:19], 0
.LBB3_839:                              ;   Parent Loop BB3_3 Depth=1
                                        ; =>  This Inner Loop Header: Depth=2
	s_sleep 1
	global_load_dwordx2 v[6:7], v54, s[12:13] offset:40
	global_load_dwordx2 v[8:9], v54, s[12:13]
	v_mov_b32_e32 v5, v3
	v_mov_b32_e32 v4, v2
	s_waitcnt vmcnt(1)
	v_and_b32_e32 v2, v6, v4
	s_waitcnt vmcnt(0)
	v_mad_u64_u32 v[2:3], s[20:21], v2, 24, v[8:9]
	v_and_b32_e32 v6, v7, v5
	v_mad_u64_u32 v[6:7], s[20:21], v6, 24, v[3:4]
	v_mov_b32_e32 v3, v6
	global_load_dwordx2 v[2:3], v[2:3], off glc
	s_waitcnt vmcnt(0)
	global_atomic_cmpswap_x2 v[2:3], v54, v[2:5], s[12:13] offset:24 glc
	s_waitcnt vmcnt(0)
	buffer_wbinvl1_vol
	v_cmp_eq_u64_e32 vcc, v[2:3], v[4:5]
	s_or_b64 s[18:19], vcc, s[18:19]
	s_andn2_b64 exec, exec, s[18:19]
	s_cbranch_execnz .LBB3_839
; %bb.840:                              ;   in Loop: Header=BB3_3 Depth=1
	s_or_b64 exec, exec, s[18:19]
.LBB3_841:                              ;   in Loop: Header=BB3_3 Depth=1
	s_or_b64 exec, exec, s[16:17]
.LBB3_842:                              ;   in Loop: Header=BB3_3 Depth=1
	s_or_b64 exec, exec, s[14:15]
	global_load_dwordx2 v[8:9], v54, s[12:13] offset:40
	global_load_dwordx4 v[4:7], v54, s[12:13]
	v_readfirstlane_b32 s15, v3
	v_readfirstlane_b32 s14, v2
	s_mov_b64 s[16:17], exec
	s_waitcnt vmcnt(1)
	v_readfirstlane_b32 s18, v8
	v_readfirstlane_b32 s19, v9
	s_and_b64 s[18:19], s[18:19], s[14:15]
	s_mul_i32 s20, s19, 24
	s_mul_hi_u32 s21, s18, 24
	s_mul_i32 s22, s18, 24
	s_add_i32 s20, s21, s20
	v_mov_b32_e32 v2, s20
	s_waitcnt vmcnt(0)
	v_add_co_u32_e32 v8, vcc, s22, v4
	v_addc_co_u32_e32 v9, vcc, v5, v2, vcc
	s_and_saveexec_b64 s[20:21], s[4:5]
	s_cbranch_execz .LBB3_844
; %bb.843:                              ;   in Loop: Header=BB3_3 Depth=1
	v_mov_b32_e32 v38, s17
	v_mov_b32_e32 v37, s16
	global_store_dwordx4 v[8:9], v[37:40], off offset:8
.LBB3_844:                              ;   in Loop: Header=BB3_3 Depth=1
	s_or_b64 exec, exec, s[20:21]
	v_mul_lo_u32 v2, v25, v25
	s_lshl_b64 s[16:17], s[18:19], 12
	v_mov_b32_e32 v10, s17
	v_add_co_u32_e32 v6, vcc, s16, v6
	v_mad_u64_u32 v[2:3], s[18:19], v27, v27, v[2:3]
	v_addc_co_u32_e32 v7, vcc, v7, v10, vcc
	v_and_or_b32 v0, v0, s48, 32
	v_mov_b32_e32 v3, v54
	v_readfirstlane_b32 s16, v6
	v_readfirstlane_b32 s17, v7
	v_mov_b32_e32 v10, v2
	s_mov_b32 s41, s40
	s_mov_b32 s42, s40
	;; [unrolled: 1-line block ×3, first 2 shown]
	s_nop 0
	global_store_dwordx4 v26, v[0:3], s[16:17]
	s_nop 0
	v_mov_b32_e32 v0, s40
	v_mov_b32_e32 v1, s41
	;; [unrolled: 1-line block ×4, first 2 shown]
	global_store_dwordx4 v26, v[0:3], s[16:17] offset:16
	global_store_dwordx4 v26, v[0:3], s[16:17] offset:32
	;; [unrolled: 1-line block ×3, first 2 shown]
	s_and_saveexec_b64 s[16:17], s[4:5]
	s_cbranch_execz .LBB3_852
; %bb.845:                              ;   in Loop: Header=BB3_3 Depth=1
	global_load_dwordx2 v[13:14], v54, s[12:13] offset:32 glc
	global_load_dwordx2 v[0:1], v54, s[12:13] offset:40
	v_mov_b32_e32 v11, s14
	v_mov_b32_e32 v12, s15
	s_waitcnt vmcnt(0)
	v_readfirstlane_b32 s18, v0
	v_readfirstlane_b32 s19, v1
	s_and_b64 s[18:19], s[18:19], s[14:15]
	s_mul_i32 s19, s19, 24
	s_mul_hi_u32 s20, s18, 24
	s_mul_i32 s18, s18, 24
	s_add_i32 s19, s20, s19
	v_mov_b32_e32 v0, s19
	v_add_co_u32_e32 v4, vcc, s18, v4
	v_addc_co_u32_e32 v5, vcc, v5, v0, vcc
	global_store_dwordx2 v[4:5], v[13:14], off
	s_waitcnt vmcnt(0)
	global_atomic_cmpswap_x2 v[2:3], v54, v[11:14], s[12:13] offset:32 glc
	s_waitcnt vmcnt(0)
	v_cmp_ne_u64_e32 vcc, v[2:3], v[13:14]
	s_and_saveexec_b64 s[18:19], vcc
	s_cbranch_execz .LBB3_848
; %bb.846:                              ;   in Loop: Header=BB3_3 Depth=1
	s_mov_b64 s[20:21], 0
.LBB3_847:                              ;   Parent Loop BB3_3 Depth=1
                                        ; =>  This Inner Loop Header: Depth=2
	s_sleep 1
	global_store_dwordx2 v[4:5], v[2:3], off
	v_mov_b32_e32 v0, s14
	v_mov_b32_e32 v1, s15
	s_waitcnt vmcnt(0)
	global_atomic_cmpswap_x2 v[0:1], v54, v[0:3], s[12:13] offset:32 glc
	s_waitcnt vmcnt(0)
	v_cmp_eq_u64_e32 vcc, v[0:1], v[2:3]
	v_mov_b32_e32 v3, v1
	s_or_b64 s[20:21], vcc, s[20:21]
	v_mov_b32_e32 v2, v0
	s_andn2_b64 exec, exec, s[20:21]
	s_cbranch_execnz .LBB3_847
.LBB3_848:                              ;   in Loop: Header=BB3_3 Depth=1
	s_or_b64 exec, exec, s[18:19]
	global_load_dwordx2 v[0:1], v54, s[12:13] offset:16
	s_mov_b64 s[20:21], exec
	v_mbcnt_lo_u32_b32 v2, s20, 0
	v_mbcnt_hi_u32_b32 v2, s21, v2
	v_cmp_eq_u32_e32 vcc, 0, v2
	s_and_saveexec_b64 s[18:19], vcc
	s_cbranch_execz .LBB3_850
; %bb.849:                              ;   in Loop: Header=BB3_3 Depth=1
	s_bcnt1_i32_b64 s20, s[20:21]
	v_mov_b32_e32 v2, s20
	v_mov_b32_e32 v3, v54
	s_waitcnt vmcnt(0)
	global_atomic_add_x2 v[0:1], v[2:3], off offset:8
.LBB3_850:                              ;   in Loop: Header=BB3_3 Depth=1
	s_or_b64 exec, exec, s[18:19]
	s_waitcnt vmcnt(0)
	global_load_dwordx2 v[2:3], v[0:1], off offset:16
	s_waitcnt vmcnt(0)
	v_cmp_eq_u64_e32 vcc, 0, v[2:3]
	s_cbranch_vccnz .LBB3_852
; %bb.851:                              ;   in Loop: Header=BB3_3 Depth=1
	global_load_dword v0, v[0:1], off offset:24
	v_mov_b32_e32 v1, v54
	s_waitcnt vmcnt(0)
	v_readfirstlane_b32 s18, v0
	s_and_b32 m0, s18, 0xffffff
	global_store_dwordx2 v[2:3], v[0:1], off
	s_sendmsg sendmsg(MSG_INTERRUPT)
.LBB3_852:                              ;   in Loop: Header=BB3_3 Depth=1
	s_or_b64 exec, exec, s[16:17]
	v_add_co_u32_e32 v0, vcc, v6, v26
	v_addc_co_u32_e32 v1, vcc, 0, v7, vcc
	s_branch .LBB3_856
.LBB3_853:                              ;   in Loop: Header=BB3_856 Depth=2
	s_or_b64 exec, exec, s[16:17]
	v_readfirstlane_b32 s16, v2
	s_cmp_eq_u32 s16, 0
	s_cbranch_scc1 .LBB3_855
; %bb.854:                              ;   in Loop: Header=BB3_856 Depth=2
	s_sleep 1
	s_cbranch_execnz .LBB3_856
	s_branch .LBB3_858
.LBB3_855:                              ;   in Loop: Header=BB3_3 Depth=1
	s_branch .LBB3_858
.LBB3_856:                              ;   Parent Loop BB3_3 Depth=1
                                        ; =>  This Inner Loop Header: Depth=2
	v_mov_b32_e32 v2, 1
	s_and_saveexec_b64 s[16:17], s[4:5]
	s_cbranch_execz .LBB3_853
; %bb.857:                              ;   in Loop: Header=BB3_856 Depth=2
	global_load_dword v2, v[8:9], off offset:20 glc
	s_waitcnt vmcnt(0)
	buffer_wbinvl1_vol
	v_and_b32_e32 v2, 1, v2
	s_branch .LBB3_853
.LBB3_858:                              ;   in Loop: Header=BB3_3 Depth=1
	global_load_dwordx2 v[0:1], v[0:1], off
	s_and_saveexec_b64 s[16:17], s[4:5]
	s_cbranch_execz .LBB3_862
; %bb.859:                              ;   in Loop: Header=BB3_3 Depth=1
	global_load_dwordx2 v[2:3], v54, s[12:13] offset:40
	global_load_dwordx2 v[13:14], v54, s[12:13] offset:24 glc
	global_load_dwordx2 v[4:5], v54, s[12:13]
	s_waitcnt vmcnt(2)
	v_readfirstlane_b32 s18, v2
	v_readfirstlane_b32 s19, v3
	s_add_u32 s20, s18, 1
	s_addc_u32 s21, s19, 0
	s_add_u32 s4, s20, s14
	s_addc_u32 s5, s21, s15
	s_cmp_eq_u64 s[4:5], 0
	s_cselect_b32 s5, s21, s5
	s_cselect_b32 s4, s20, s4
	s_and_b64 s[14:15], s[4:5], s[18:19]
	s_mul_i32 s15, s15, 24
	s_mul_hi_u32 s18, s14, 24
	s_mul_i32 s14, s14, 24
	s_add_i32 s15, s18, s15
	v_mov_b32_e32 v2, s15
	s_waitcnt vmcnt(0)
	v_add_co_u32_e32 v6, vcc, s14, v4
	v_addc_co_u32_e32 v7, vcc, v5, v2, vcc
	v_mov_b32_e32 v11, s4
	global_store_dwordx2 v[6:7], v[13:14], off
	v_mov_b32_e32 v12, s5
	s_waitcnt vmcnt(0)
	global_atomic_cmpswap_x2 v[4:5], v54, v[11:14], s[12:13] offset:24 glc
	s_waitcnt vmcnt(0)
	v_cmp_ne_u64_e32 vcc, v[4:5], v[13:14]
	s_and_b64 exec, exec, vcc
	s_cbranch_execz .LBB3_862
; %bb.860:                              ;   in Loop: Header=BB3_3 Depth=1
	s_mov_b64 s[14:15], 0
.LBB3_861:                              ;   Parent Loop BB3_3 Depth=1
                                        ; =>  This Inner Loop Header: Depth=2
	s_sleep 1
	global_store_dwordx2 v[6:7], v[4:5], off
	v_mov_b32_e32 v2, s4
	v_mov_b32_e32 v3, s5
	s_waitcnt vmcnt(0)
	global_atomic_cmpswap_x2 v[2:3], v54, v[2:5], s[12:13] offset:24 glc
	s_waitcnt vmcnt(0)
	v_cmp_eq_u64_e32 vcc, v[2:3], v[4:5]
	v_mov_b32_e32 v5, v3
	s_or_b64 s[14:15], vcc, s[14:15]
	v_mov_b32_e32 v4, v2
	s_andn2_b64 exec, exec, s[14:15]
	s_cbranch_execnz .LBB3_861
.LBB3_862:                              ;   in Loop: Header=BB3_3 Depth=1
	s_or_b64 exec, exec, s[16:17]
	v_readfirstlane_b32 s4, v47
	v_mov_b32_e32 v2, 0
	v_mov_b32_e32 v3, 0
	v_cmp_eq_u32_e64 s[4:5], s4, v47
	s_and_saveexec_b64 s[14:15], s[4:5]
	s_cbranch_execz .LBB3_868
; %bb.863:                              ;   in Loop: Header=BB3_3 Depth=1
	global_load_dwordx2 v[4:5], v54, s[12:13] offset:24 glc
	s_waitcnt vmcnt(0)
	buffer_wbinvl1_vol
	global_load_dwordx2 v[2:3], v54, s[12:13] offset:40
	global_load_dwordx2 v[6:7], v54, s[12:13]
	s_waitcnt vmcnt(1)
	v_and_b32_e32 v2, v2, v4
	v_and_b32_e32 v3, v3, v5
	v_mul_lo_u32 v3, v3, 24
	v_mul_hi_u32 v8, v2, 24
	v_mul_lo_u32 v2, v2, 24
	v_add_u32_e32 v3, v8, v3
	s_waitcnt vmcnt(0)
	v_add_co_u32_e32 v2, vcc, v6, v2
	v_addc_co_u32_e32 v3, vcc, v7, v3, vcc
	global_load_dwordx2 v[2:3], v[2:3], off glc
	s_waitcnt vmcnt(0)
	global_atomic_cmpswap_x2 v[2:3], v54, v[2:5], s[12:13] offset:24 glc
	s_waitcnt vmcnt(0)
	buffer_wbinvl1_vol
	v_cmp_ne_u64_e32 vcc, v[2:3], v[4:5]
	s_and_saveexec_b64 s[16:17], vcc
	s_cbranch_execz .LBB3_867
; %bb.864:                              ;   in Loop: Header=BB3_3 Depth=1
	s_mov_b64 s[18:19], 0
.LBB3_865:                              ;   Parent Loop BB3_3 Depth=1
                                        ; =>  This Inner Loop Header: Depth=2
	s_sleep 1
	global_load_dwordx2 v[6:7], v54, s[12:13] offset:40
	global_load_dwordx2 v[8:9], v54, s[12:13]
	v_mov_b32_e32 v5, v3
	v_mov_b32_e32 v4, v2
	s_waitcnt vmcnt(1)
	v_and_b32_e32 v2, v6, v4
	s_waitcnt vmcnt(0)
	v_mad_u64_u32 v[2:3], s[20:21], v2, 24, v[8:9]
	v_and_b32_e32 v6, v7, v5
	v_mad_u64_u32 v[6:7], s[20:21], v6, 24, v[3:4]
	v_mov_b32_e32 v3, v6
	global_load_dwordx2 v[2:3], v[2:3], off glc
	s_waitcnt vmcnt(0)
	global_atomic_cmpswap_x2 v[2:3], v54, v[2:5], s[12:13] offset:24 glc
	s_waitcnt vmcnt(0)
	buffer_wbinvl1_vol
	v_cmp_eq_u64_e32 vcc, v[2:3], v[4:5]
	s_or_b64 s[18:19], vcc, s[18:19]
	s_andn2_b64 exec, exec, s[18:19]
	s_cbranch_execnz .LBB3_865
; %bb.866:                              ;   in Loop: Header=BB3_3 Depth=1
	s_or_b64 exec, exec, s[18:19]
.LBB3_867:                              ;   in Loop: Header=BB3_3 Depth=1
	s_or_b64 exec, exec, s[16:17]
.LBB3_868:                              ;   in Loop: Header=BB3_3 Depth=1
	s_or_b64 exec, exec, s[14:15]
	global_load_dwordx2 v[8:9], v54, s[12:13] offset:40
	global_load_dwordx4 v[4:7], v54, s[12:13]
	v_readfirstlane_b32 s15, v3
	v_readfirstlane_b32 s14, v2
	s_mov_b64 s[16:17], exec
	s_waitcnt vmcnt(1)
	v_readfirstlane_b32 s18, v8
	v_readfirstlane_b32 s19, v9
	s_and_b64 s[18:19], s[18:19], s[14:15]
	s_mul_i32 s20, s19, 24
	s_mul_hi_u32 s21, s18, 24
	s_mul_i32 s22, s18, 24
	s_add_i32 s20, s21, s20
	v_mov_b32_e32 v2, s20
	s_waitcnt vmcnt(0)
	v_add_co_u32_e32 v8, vcc, s22, v4
	v_addc_co_u32_e32 v9, vcc, v5, v2, vcc
	s_and_saveexec_b64 s[20:21], s[4:5]
	s_cbranch_execz .LBB3_870
; %bb.869:                              ;   in Loop: Header=BB3_3 Depth=1
	v_mov_b32_e32 v38, s17
	v_mov_b32_e32 v37, s16
	global_store_dwordx4 v[8:9], v[37:40], off offset:8
.LBB3_870:                              ;   in Loop: Header=BB3_3 Depth=1
	s_or_b64 exec, exec, s[20:21]
	s_lshl_b64 s[16:17], s[18:19], 12
	v_mov_b32_e32 v2, s17
	v_add_co_u32_e32 v6, vcc, s16, v6
	v_addc_co_u32_e32 v7, vcc, v7, v2, vcc
	v_and_or_b32 v0, v0, s49, 34
	v_mov_b32_e32 v2, v10
	v_mov_b32_e32 v3, v54
	v_readfirstlane_b32 s16, v6
	v_readfirstlane_b32 s17, v7
	s_mov_b32 s41, s40
	s_mov_b32 s42, s40
	;; [unrolled: 1-line block ×3, first 2 shown]
	s_nop 1
	global_store_dwordx4 v26, v[0:3], s[16:17]
	s_nop 0
	v_mov_b32_e32 v0, s40
	v_mov_b32_e32 v1, s41
	;; [unrolled: 1-line block ×4, first 2 shown]
	global_store_dwordx4 v26, v[0:3], s[16:17] offset:16
	global_store_dwordx4 v26, v[0:3], s[16:17] offset:32
	;; [unrolled: 1-line block ×3, first 2 shown]
	s_and_saveexec_b64 s[16:17], s[4:5]
	s_cbranch_execz .LBB3_878
; %bb.871:                              ;   in Loop: Header=BB3_3 Depth=1
	global_load_dwordx2 v[12:13], v54, s[12:13] offset:32 glc
	global_load_dwordx2 v[0:1], v54, s[12:13] offset:40
	v_mov_b32_e32 v10, s14
	v_mov_b32_e32 v11, s15
	s_waitcnt vmcnt(0)
	v_readfirstlane_b32 s18, v0
	v_readfirstlane_b32 s19, v1
	s_and_b64 s[18:19], s[18:19], s[14:15]
	s_mul_i32 s19, s19, 24
	s_mul_hi_u32 s20, s18, 24
	s_mul_i32 s18, s18, 24
	s_add_i32 s19, s20, s19
	v_mov_b32_e32 v0, s19
	v_add_co_u32_e32 v4, vcc, s18, v4
	v_addc_co_u32_e32 v5, vcc, v5, v0, vcc
	global_store_dwordx2 v[4:5], v[12:13], off
	s_waitcnt vmcnt(0)
	global_atomic_cmpswap_x2 v[2:3], v54, v[10:13], s[12:13] offset:32 glc
	s_waitcnt vmcnt(0)
	v_cmp_ne_u64_e32 vcc, v[2:3], v[12:13]
	s_and_saveexec_b64 s[18:19], vcc
	s_cbranch_execz .LBB3_874
; %bb.872:                              ;   in Loop: Header=BB3_3 Depth=1
	s_mov_b64 s[20:21], 0
.LBB3_873:                              ;   Parent Loop BB3_3 Depth=1
                                        ; =>  This Inner Loop Header: Depth=2
	s_sleep 1
	global_store_dwordx2 v[4:5], v[2:3], off
	v_mov_b32_e32 v0, s14
	v_mov_b32_e32 v1, s15
	s_waitcnt vmcnt(0)
	global_atomic_cmpswap_x2 v[0:1], v54, v[0:3], s[12:13] offset:32 glc
	s_waitcnt vmcnt(0)
	v_cmp_eq_u64_e32 vcc, v[0:1], v[2:3]
	v_mov_b32_e32 v3, v1
	s_or_b64 s[20:21], vcc, s[20:21]
	v_mov_b32_e32 v2, v0
	s_andn2_b64 exec, exec, s[20:21]
	s_cbranch_execnz .LBB3_873
.LBB3_874:                              ;   in Loop: Header=BB3_3 Depth=1
	s_or_b64 exec, exec, s[18:19]
	global_load_dwordx2 v[0:1], v54, s[12:13] offset:16
	s_mov_b64 s[20:21], exec
	v_mbcnt_lo_u32_b32 v2, s20, 0
	v_mbcnt_hi_u32_b32 v2, s21, v2
	v_cmp_eq_u32_e32 vcc, 0, v2
	s_and_saveexec_b64 s[18:19], vcc
	s_cbranch_execz .LBB3_876
; %bb.875:                              ;   in Loop: Header=BB3_3 Depth=1
	s_bcnt1_i32_b64 s20, s[20:21]
	v_mov_b32_e32 v53, s20
	s_waitcnt vmcnt(0)
	global_atomic_add_x2 v[0:1], v[53:54], off offset:8
.LBB3_876:                              ;   in Loop: Header=BB3_3 Depth=1
	s_or_b64 exec, exec, s[18:19]
	s_waitcnt vmcnt(0)
	global_load_dwordx2 v[2:3], v[0:1], off offset:16
	s_waitcnt vmcnt(0)
	v_cmp_eq_u64_e32 vcc, 0, v[2:3]
	s_cbranch_vccnz .LBB3_878
; %bb.877:                              ;   in Loop: Header=BB3_3 Depth=1
	global_load_dword v53, v[0:1], off offset:24
	s_waitcnt vmcnt(0)
	v_readfirstlane_b32 s18, v53
	s_and_b32 m0, s18, 0xffffff
	global_store_dwordx2 v[2:3], v[53:54], off
	s_sendmsg sendmsg(MSG_INTERRUPT)
.LBB3_878:                              ;   in Loop: Header=BB3_3 Depth=1
	s_or_b64 exec, exec, s[16:17]
	v_add_co_u32_e32 v0, vcc, v6, v26
	v_addc_co_u32_e32 v1, vcc, 0, v7, vcc
	s_branch .LBB3_882
.LBB3_879:                              ;   in Loop: Header=BB3_882 Depth=2
	s_or_b64 exec, exec, s[16:17]
	v_readfirstlane_b32 s16, v2
	s_cmp_eq_u32 s16, 0
	s_cbranch_scc1 .LBB3_881
; %bb.880:                              ;   in Loop: Header=BB3_882 Depth=2
	s_sleep 1
	s_cbranch_execnz .LBB3_882
	s_branch .LBB3_884
.LBB3_881:                              ;   in Loop: Header=BB3_3 Depth=1
	s_branch .LBB3_884
.LBB3_882:                              ;   Parent Loop BB3_3 Depth=1
                                        ; =>  This Inner Loop Header: Depth=2
	v_mov_b32_e32 v2, 1
	s_and_saveexec_b64 s[16:17], s[4:5]
	s_cbranch_execz .LBB3_879
; %bb.883:                              ;   in Loop: Header=BB3_882 Depth=2
	global_load_dword v2, v[8:9], off offset:20 glc
	s_waitcnt vmcnt(0)
	buffer_wbinvl1_vol
	v_and_b32_e32 v2, 1, v2
	s_branch .LBB3_879
.LBB3_884:                              ;   in Loop: Header=BB3_3 Depth=1
	global_load_dwordx2 v[0:1], v[0:1], off
	s_and_saveexec_b64 s[16:17], s[4:5]
	s_cbranch_execz .LBB3_888
; %bb.885:                              ;   in Loop: Header=BB3_3 Depth=1
	global_load_dwordx2 v[1:2], v54, s[12:13] offset:40
	global_load_dwordx2 v[9:10], v54, s[12:13] offset:24 glc
	global_load_dwordx2 v[3:4], v54, s[12:13]
	s_waitcnt vmcnt(2)
	v_readfirstlane_b32 s18, v1
	v_readfirstlane_b32 s19, v2
	s_add_u32 s20, s18, 1
	s_addc_u32 s21, s19, 0
	s_add_u32 s4, s20, s14
	s_addc_u32 s5, s21, s15
	s_cmp_eq_u64 s[4:5], 0
	s_cselect_b32 s5, s21, s5
	s_cselect_b32 s4, s20, s4
	s_and_b64 s[14:15], s[4:5], s[18:19]
	s_mul_i32 s15, s15, 24
	s_mul_hi_u32 s18, s14, 24
	s_mul_i32 s14, s14, 24
	s_add_i32 s15, s18, s15
	v_mov_b32_e32 v1, s15
	s_waitcnt vmcnt(0)
	v_add_co_u32_e32 v5, vcc, s14, v3
	v_addc_co_u32_e32 v6, vcc, v4, v1, vcc
	v_mov_b32_e32 v7, s4
	global_store_dwordx2 v[5:6], v[9:10], off
	v_mov_b32_e32 v8, s5
	s_waitcnt vmcnt(0)
	global_atomic_cmpswap_x2 v[3:4], v54, v[7:10], s[12:13] offset:24 glc
	s_waitcnt vmcnt(0)
	v_cmp_ne_u64_e32 vcc, v[3:4], v[9:10]
	s_and_b64 exec, exec, vcc
	s_cbranch_execz .LBB3_888
; %bb.886:                              ;   in Loop: Header=BB3_3 Depth=1
	s_mov_b64 s[14:15], 0
.LBB3_887:                              ;   Parent Loop BB3_3 Depth=1
                                        ; =>  This Inner Loop Header: Depth=2
	s_sleep 1
	global_store_dwordx2 v[5:6], v[3:4], off
	v_mov_b32_e32 v1, s4
	v_mov_b32_e32 v2, s5
	s_waitcnt vmcnt(0)
	global_atomic_cmpswap_x2 v[1:2], v54, v[1:4], s[12:13] offset:24 glc
	s_waitcnt vmcnt(0)
	v_cmp_eq_u64_e32 vcc, v[1:2], v[3:4]
	v_mov_b32_e32 v4, v2
	s_or_b64 s[14:15], vcc, s[14:15]
	v_mov_b32_e32 v3, v1
	s_andn2_b64 exec, exec, s[14:15]
	s_cbranch_execnz .LBB3_887
.LBB3_888:                              ;   in Loop: Header=BB3_3 Depth=1
	s_or_b64 exec, exec, s[16:17]
                                        ; implicit-def: $vgpr25
.LBB3_889:                              ;   in Loop: Header=BB3_3 Depth=1
	s_andn2_saveexec_b64 s[10:11], s[10:11]
	s_cbranch_execz .LBB3_912
; %bb.890:                              ;   in Loop: Header=BB3_3 Depth=1
	flat_load_dword v27, v[44:45]
	s_load_dwordx2 s[12:13], s[26:27], 0x50
	v_readfirstlane_b32 s4, v47
	v_mov_b32_e32 v4, 0
	v_mov_b32_e32 v5, 0
	v_cmp_eq_u32_e64 s[4:5], s4, v47
	s_and_saveexec_b64 s[14:15], s[4:5]
	s_cbranch_execz .LBB3_896
; %bb.891:                              ;   in Loop: Header=BB3_3 Depth=1
	s_waitcnt lgkmcnt(0)
	global_load_dwordx2 v[2:3], v54, s[12:13] offset:24 glc
	s_waitcnt vmcnt(0)
	buffer_wbinvl1_vol
	global_load_dwordx2 v[0:1], v54, s[12:13] offset:40
	global_load_dwordx2 v[4:5], v54, s[12:13]
	s_waitcnt vmcnt(1)
	v_and_b32_e32 v0, v0, v2
	v_and_b32_e32 v1, v1, v3
	v_mul_lo_u32 v1, v1, 24
	v_mul_hi_u32 v6, v0, 24
	v_mul_lo_u32 v0, v0, 24
	v_add_u32_e32 v1, v6, v1
	s_waitcnt vmcnt(0)
	v_add_co_u32_e32 v0, vcc, v4, v0
	v_addc_co_u32_e32 v1, vcc, v5, v1, vcc
	global_load_dwordx2 v[0:1], v[0:1], off glc
	s_waitcnt vmcnt(0)
	global_atomic_cmpswap_x2 v[4:5], v54, v[0:3], s[12:13] offset:24 glc
	s_waitcnt vmcnt(0)
	buffer_wbinvl1_vol
	v_cmp_ne_u64_e32 vcc, v[4:5], v[2:3]
	s_and_saveexec_b64 s[16:17], vcc
	s_cbranch_execz .LBB3_895
; %bb.892:                              ;   in Loop: Header=BB3_3 Depth=1
	s_mov_b64 s[18:19], 0
.LBB3_893:                              ;   Parent Loop BB3_3 Depth=1
                                        ; =>  This Inner Loop Header: Depth=2
	s_sleep 1
	global_load_dwordx2 v[0:1], v54, s[12:13] offset:40
	global_load_dwordx2 v[6:7], v54, s[12:13]
	v_mov_b32_e32 v2, v4
	v_mov_b32_e32 v3, v5
	s_waitcnt vmcnt(1)
	v_and_b32_e32 v0, v0, v2
	s_waitcnt vmcnt(0)
	v_mad_u64_u32 v[4:5], s[20:21], v0, 24, v[6:7]
	v_and_b32_e32 v1, v1, v3
	v_mov_b32_e32 v0, v5
	v_mad_u64_u32 v[0:1], s[20:21], v1, 24, v[0:1]
	v_mov_b32_e32 v5, v0
	global_load_dwordx2 v[0:1], v[4:5], off glc
	s_waitcnt vmcnt(0)
	global_atomic_cmpswap_x2 v[4:5], v54, v[0:3], s[12:13] offset:24 glc
	s_waitcnt vmcnt(0)
	buffer_wbinvl1_vol
	v_cmp_eq_u64_e32 vcc, v[4:5], v[2:3]
	s_or_b64 s[18:19], vcc, s[18:19]
	s_andn2_b64 exec, exec, s[18:19]
	s_cbranch_execnz .LBB3_893
; %bb.894:                              ;   in Loop: Header=BB3_3 Depth=1
	s_or_b64 exec, exec, s[18:19]
.LBB3_895:                              ;   in Loop: Header=BB3_3 Depth=1
	s_or_b64 exec, exec, s[16:17]
.LBB3_896:                              ;   in Loop: Header=BB3_3 Depth=1
	s_or_b64 exec, exec, s[14:15]
	s_waitcnt lgkmcnt(0)
	global_load_dwordx2 v[6:7], v54, s[12:13] offset:40
	global_load_dwordx4 v[0:3], v54, s[12:13]
	v_readfirstlane_b32 s15, v5
	v_readfirstlane_b32 s14, v4
	s_mov_b64 s[16:17], exec
	s_waitcnt vmcnt(0)
	v_readfirstlane_b32 s18, v6
	v_readfirstlane_b32 s19, v7
	s_and_b64 s[18:19], s[18:19], s[14:15]
	s_mul_i32 s20, s19, 24
	s_mul_hi_u32 s21, s18, 24
	s_mul_i32 s22, s18, 24
	s_add_i32 s20, s21, s20
	v_mov_b32_e32 v5, s20
	v_add_co_u32_e32 v4, vcc, s22, v0
	v_addc_co_u32_e32 v5, vcc, v1, v5, vcc
	s_and_saveexec_b64 s[20:21], s[4:5]
	s_cbranch_execz .LBB3_898
; %bb.897:                              ;   in Loop: Header=BB3_3 Depth=1
	v_mov_b32_e32 v38, s17
	v_mov_b32_e32 v37, s16
	global_store_dwordx4 v[4:5], v[37:40], off offset:8
.LBB3_898:                              ;   in Loop: Header=BB3_3 Depth=1
	s_or_b64 exec, exec, s[20:21]
	s_lshl_b64 s[16:17], s[18:19], 12
	v_mov_b32_e32 v6, s17
	v_add_co_u32_e32 v8, vcc, s16, v2
	v_addc_co_u32_e32 v9, vcc, v3, v6, vcc
	s_mov_b32 s41, s40
	s_mov_b32 s42, s40
	;; [unrolled: 1-line block ×3, first 2 shown]
	v_mov_b32_e32 v10, s40
	v_lshlrev_b32_e32 v26, 6, v47
	v_mov_b32_e32 v53, v54
	v_mov_b32_e32 v55, v54
	v_readfirstlane_b32 s16, v8
	v_readfirstlane_b32 s17, v9
	v_mov_b32_e32 v11, s41
	v_mov_b32_e32 v12, s42
	;; [unrolled: 1-line block ×3, first 2 shown]
	s_nop 1
	global_store_dwordx4 v26, v[52:55], s[16:17]
	global_store_dwordx4 v26, v[10:13], s[16:17] offset:16
	global_store_dwordx4 v26, v[10:13], s[16:17] offset:32
	;; [unrolled: 1-line block ×3, first 2 shown]
	s_and_saveexec_b64 s[16:17], s[4:5]
	s_cbranch_execz .LBB3_906
; %bb.899:                              ;   in Loop: Header=BB3_3 Depth=1
	global_load_dwordx2 v[12:13], v54, s[12:13] offset:32 glc
	global_load_dwordx2 v[2:3], v54, s[12:13] offset:40
	v_mov_b32_e32 v10, s14
	v_mov_b32_e32 v11, s15
	s_waitcnt vmcnt(0)
	v_and_b32_e32 v2, s14, v2
	v_and_b32_e32 v3, s15, v3
	v_mul_lo_u32 v3, v3, 24
	v_mul_hi_u32 v6, v2, 24
	v_mul_lo_u32 v2, v2, 24
	v_add_u32_e32 v3, v6, v3
	v_add_co_u32_e32 v6, vcc, v0, v2
	v_addc_co_u32_e32 v7, vcc, v1, v3, vcc
	global_store_dwordx2 v[6:7], v[12:13], off
	s_waitcnt vmcnt(0)
	global_atomic_cmpswap_x2 v[2:3], v54, v[10:13], s[12:13] offset:32 glc
	s_waitcnt vmcnt(0)
	v_cmp_ne_u64_e32 vcc, v[2:3], v[12:13]
	s_and_saveexec_b64 s[18:19], vcc
	s_cbranch_execz .LBB3_902
; %bb.900:                              ;   in Loop: Header=BB3_3 Depth=1
	s_mov_b64 s[20:21], 0
.LBB3_901:                              ;   Parent Loop BB3_3 Depth=1
                                        ; =>  This Inner Loop Header: Depth=2
	s_sleep 1
	global_store_dwordx2 v[6:7], v[2:3], off
	v_mov_b32_e32 v0, s14
	v_mov_b32_e32 v1, s15
	s_waitcnt vmcnt(0)
	global_atomic_cmpswap_x2 v[0:1], v54, v[0:3], s[12:13] offset:32 glc
	s_waitcnt vmcnt(0)
	v_cmp_eq_u64_e32 vcc, v[0:1], v[2:3]
	v_mov_b32_e32 v3, v1
	s_or_b64 s[20:21], vcc, s[20:21]
	v_mov_b32_e32 v2, v0
	s_andn2_b64 exec, exec, s[20:21]
	s_cbranch_execnz .LBB3_901
.LBB3_902:                              ;   in Loop: Header=BB3_3 Depth=1
	s_or_b64 exec, exec, s[18:19]
	global_load_dwordx2 v[0:1], v54, s[12:13] offset:16
	s_mov_b64 s[20:21], exec
	v_mbcnt_lo_u32_b32 v2, s20, 0
	v_mbcnt_hi_u32_b32 v2, s21, v2
	v_cmp_eq_u32_e32 vcc, 0, v2
	s_and_saveexec_b64 s[18:19], vcc
	s_cbranch_execz .LBB3_904
; %bb.903:                              ;   in Loop: Header=BB3_3 Depth=1
	s_bcnt1_i32_b64 s20, s[20:21]
	v_mov_b32_e32 v53, s20
	s_waitcnt vmcnt(0)
	global_atomic_add_x2 v[0:1], v[53:54], off offset:8
.LBB3_904:                              ;   in Loop: Header=BB3_3 Depth=1
	s_or_b64 exec, exec, s[18:19]
	s_waitcnt vmcnt(0)
	global_load_dwordx2 v[2:3], v[0:1], off offset:16
	s_waitcnt vmcnt(0)
	v_cmp_eq_u64_e32 vcc, 0, v[2:3]
	s_cbranch_vccnz .LBB3_906
; %bb.905:                              ;   in Loop: Header=BB3_3 Depth=1
	global_load_dword v53, v[0:1], off offset:24
	s_waitcnt vmcnt(0)
	v_readfirstlane_b32 s18, v53
	s_and_b32 m0, s18, 0xffffff
	global_store_dwordx2 v[2:3], v[53:54], off
	s_sendmsg sendmsg(MSG_INTERRUPT)
.LBB3_906:                              ;   in Loop: Header=BB3_3 Depth=1
	s_or_b64 exec, exec, s[16:17]
	v_add_co_u32_e32 v0, vcc, v8, v26
	v_addc_co_u32_e32 v1, vcc, 0, v9, vcc
	s_branch .LBB3_910
.LBB3_907:                              ;   in Loop: Header=BB3_910 Depth=2
	s_or_b64 exec, exec, s[16:17]
	v_readfirstlane_b32 s16, v2
	s_cmp_eq_u32 s16, 0
	s_cbranch_scc1 .LBB3_909
; %bb.908:                              ;   in Loop: Header=BB3_910 Depth=2
	s_sleep 1
	s_cbranch_execnz .LBB3_910
	s_branch .LBB3_937
.LBB3_909:                              ;   in Loop: Header=BB3_3 Depth=1
	s_branch .LBB3_937
.LBB3_910:                              ;   Parent Loop BB3_3 Depth=1
                                        ; =>  This Inner Loop Header: Depth=2
	v_mov_b32_e32 v2, 1
	s_and_saveexec_b64 s[16:17], s[4:5]
	s_cbranch_execz .LBB3_907
; %bb.911:                              ;   in Loop: Header=BB3_910 Depth=2
	global_load_dword v2, v[4:5], off offset:20 glc
	s_waitcnt vmcnt(0)
	buffer_wbinvl1_vol
	v_and_b32_e32 v2, 1, v2
	s_branch .LBB3_907
.LBB3_912:                              ;   in Loop: Header=BB3_3 Depth=1
	s_or_b64 exec, exec, s[10:11]
                                        ; implicit-def: $vgpr25
.LBB3_913:                              ;   in Loop: Header=BB3_3 Depth=1
	s_andn2_saveexec_b64 s[8:9], s[8:9]
	s_cbranch_execz .LBB3_1552
.LBB3_914:                              ;   in Loop: Header=BB3_3 Depth=1
	v_cmp_ne_u32_e32 vcc, 1, v46
                                        ; implicit-def: $vgpr0_vgpr1
	s_and_saveexec_b64 s[4:5], vcc
	s_xor_b64 s[10:11], exec, s[4:5]
	s_cbranch_execz .LBB3_1331
; %bb.915:                              ;   in Loop: Header=BB3_3 Depth=1
	flat_load_dword v27, v[44:45]
	s_load_dwordx2 s[12:13], s[26:27], 0x50
	v_readfirstlane_b32 s4, v47
	v_mov_b32_e32 v4, 0
	v_mov_b32_e32 v5, 0
	v_cmp_eq_u32_e64 s[4:5], s4, v47
	s_and_saveexec_b64 s[14:15], s[4:5]
	s_cbranch_execz .LBB3_921
; %bb.916:                              ;   in Loop: Header=BB3_3 Depth=1
	s_waitcnt lgkmcnt(0)
	global_load_dwordx2 v[2:3], v54, s[12:13] offset:24 glc
	s_waitcnt vmcnt(0)
	buffer_wbinvl1_vol
	global_load_dwordx2 v[0:1], v54, s[12:13] offset:40
	global_load_dwordx2 v[4:5], v54, s[12:13]
	s_waitcnt vmcnt(1)
	v_and_b32_e32 v0, v0, v2
	v_and_b32_e32 v1, v1, v3
	v_mul_lo_u32 v1, v1, 24
	v_mul_hi_u32 v6, v0, 24
	v_mul_lo_u32 v0, v0, 24
	v_add_u32_e32 v1, v6, v1
	s_waitcnt vmcnt(0)
	v_add_co_u32_e32 v0, vcc, v4, v0
	v_addc_co_u32_e32 v1, vcc, v5, v1, vcc
	global_load_dwordx2 v[0:1], v[0:1], off glc
	s_waitcnt vmcnt(0)
	global_atomic_cmpswap_x2 v[4:5], v54, v[0:3], s[12:13] offset:24 glc
	s_waitcnt vmcnt(0)
	buffer_wbinvl1_vol
	v_cmp_ne_u64_e32 vcc, v[4:5], v[2:3]
	s_and_saveexec_b64 s[16:17], vcc
	s_cbranch_execz .LBB3_920
; %bb.917:                              ;   in Loop: Header=BB3_3 Depth=1
	s_mov_b64 s[18:19], 0
.LBB3_918:                              ;   Parent Loop BB3_3 Depth=1
                                        ; =>  This Inner Loop Header: Depth=2
	s_sleep 1
	global_load_dwordx2 v[0:1], v54, s[12:13] offset:40
	global_load_dwordx2 v[6:7], v54, s[12:13]
	v_mov_b32_e32 v2, v4
	v_mov_b32_e32 v3, v5
	s_waitcnt vmcnt(1)
	v_and_b32_e32 v0, v0, v2
	s_waitcnt vmcnt(0)
	v_mad_u64_u32 v[4:5], s[20:21], v0, 24, v[6:7]
	v_and_b32_e32 v1, v1, v3
	v_mov_b32_e32 v0, v5
	v_mad_u64_u32 v[0:1], s[20:21], v1, 24, v[0:1]
	v_mov_b32_e32 v5, v0
	global_load_dwordx2 v[0:1], v[4:5], off glc
	s_waitcnt vmcnt(0)
	global_atomic_cmpswap_x2 v[4:5], v54, v[0:3], s[12:13] offset:24 glc
	s_waitcnt vmcnt(0)
	buffer_wbinvl1_vol
	v_cmp_eq_u64_e32 vcc, v[4:5], v[2:3]
	s_or_b64 s[18:19], vcc, s[18:19]
	s_andn2_b64 exec, exec, s[18:19]
	s_cbranch_execnz .LBB3_918
; %bb.919:                              ;   in Loop: Header=BB3_3 Depth=1
	s_or_b64 exec, exec, s[18:19]
.LBB3_920:                              ;   in Loop: Header=BB3_3 Depth=1
	s_or_b64 exec, exec, s[16:17]
.LBB3_921:                              ;   in Loop: Header=BB3_3 Depth=1
	s_or_b64 exec, exec, s[14:15]
	s_waitcnt lgkmcnt(0)
	global_load_dwordx2 v[6:7], v54, s[12:13] offset:40
	global_load_dwordx4 v[0:3], v54, s[12:13]
	v_readfirstlane_b32 s15, v5
	v_readfirstlane_b32 s14, v4
	s_mov_b64 s[16:17], exec
	s_waitcnt vmcnt(0)
	v_readfirstlane_b32 s18, v6
	v_readfirstlane_b32 s19, v7
	s_and_b64 s[18:19], s[18:19], s[14:15]
	s_mul_i32 s20, s19, 24
	s_mul_hi_u32 s21, s18, 24
	s_mul_i32 s22, s18, 24
	s_add_i32 s20, s21, s20
	v_mov_b32_e32 v5, s20
	v_add_co_u32_e32 v4, vcc, s22, v0
	v_addc_co_u32_e32 v5, vcc, v1, v5, vcc
	s_and_saveexec_b64 s[20:21], s[4:5]
	s_cbranch_execz .LBB3_923
; %bb.922:                              ;   in Loop: Header=BB3_3 Depth=1
	v_mov_b32_e32 v38, s17
	v_mov_b32_e32 v37, s16
	global_store_dwordx4 v[4:5], v[37:40], off offset:8
.LBB3_923:                              ;   in Loop: Header=BB3_3 Depth=1
	s_or_b64 exec, exec, s[20:21]
	s_lshl_b64 s[16:17], s[18:19], 12
	v_mov_b32_e32 v6, s17
	v_add_co_u32_e32 v8, vcc, s16, v2
	v_addc_co_u32_e32 v9, vcc, v3, v6, vcc
	s_mov_b32 s41, s40
	s_mov_b32 s42, s40
	;; [unrolled: 1-line block ×3, first 2 shown]
	v_mov_b32_e32 v10, s40
	v_lshlrev_b32_e32 v26, 6, v47
	v_mov_b32_e32 v53, v54
	v_mov_b32_e32 v55, v54
	v_readfirstlane_b32 s16, v8
	v_readfirstlane_b32 s17, v9
	v_mov_b32_e32 v11, s41
	v_mov_b32_e32 v12, s42
	;; [unrolled: 1-line block ×3, first 2 shown]
	s_nop 1
	global_store_dwordx4 v26, v[52:55], s[16:17]
	global_store_dwordx4 v26, v[10:13], s[16:17] offset:16
	global_store_dwordx4 v26, v[10:13], s[16:17] offset:32
	;; [unrolled: 1-line block ×3, first 2 shown]
	s_and_saveexec_b64 s[16:17], s[4:5]
	s_cbranch_execz .LBB3_931
; %bb.924:                              ;   in Loop: Header=BB3_3 Depth=1
	global_load_dwordx2 v[12:13], v54, s[12:13] offset:32 glc
	global_load_dwordx2 v[2:3], v54, s[12:13] offset:40
	v_mov_b32_e32 v10, s14
	v_mov_b32_e32 v11, s15
	s_waitcnt vmcnt(0)
	v_and_b32_e32 v2, s14, v2
	v_and_b32_e32 v3, s15, v3
	v_mul_lo_u32 v3, v3, 24
	v_mul_hi_u32 v6, v2, 24
	v_mul_lo_u32 v2, v2, 24
	v_add_u32_e32 v3, v6, v3
	v_add_co_u32_e32 v6, vcc, v0, v2
	v_addc_co_u32_e32 v7, vcc, v1, v3, vcc
	global_store_dwordx2 v[6:7], v[12:13], off
	s_waitcnt vmcnt(0)
	global_atomic_cmpswap_x2 v[2:3], v54, v[10:13], s[12:13] offset:32 glc
	s_waitcnt vmcnt(0)
	v_cmp_ne_u64_e32 vcc, v[2:3], v[12:13]
	s_and_saveexec_b64 s[18:19], vcc
	s_cbranch_execz .LBB3_927
; %bb.925:                              ;   in Loop: Header=BB3_3 Depth=1
	s_mov_b64 s[20:21], 0
.LBB3_926:                              ;   Parent Loop BB3_3 Depth=1
                                        ; =>  This Inner Loop Header: Depth=2
	s_sleep 1
	global_store_dwordx2 v[6:7], v[2:3], off
	v_mov_b32_e32 v0, s14
	v_mov_b32_e32 v1, s15
	s_waitcnt vmcnt(0)
	global_atomic_cmpswap_x2 v[0:1], v54, v[0:3], s[12:13] offset:32 glc
	s_waitcnt vmcnt(0)
	v_cmp_eq_u64_e32 vcc, v[0:1], v[2:3]
	v_mov_b32_e32 v3, v1
	s_or_b64 s[20:21], vcc, s[20:21]
	v_mov_b32_e32 v2, v0
	s_andn2_b64 exec, exec, s[20:21]
	s_cbranch_execnz .LBB3_926
.LBB3_927:                              ;   in Loop: Header=BB3_3 Depth=1
	s_or_b64 exec, exec, s[18:19]
	global_load_dwordx2 v[0:1], v54, s[12:13] offset:16
	s_mov_b64 s[20:21], exec
	v_mbcnt_lo_u32_b32 v2, s20, 0
	v_mbcnt_hi_u32_b32 v2, s21, v2
	v_cmp_eq_u32_e32 vcc, 0, v2
	s_and_saveexec_b64 s[18:19], vcc
	s_cbranch_execz .LBB3_929
; %bb.928:                              ;   in Loop: Header=BB3_3 Depth=1
	s_bcnt1_i32_b64 s20, s[20:21]
	v_mov_b32_e32 v53, s20
	s_waitcnt vmcnt(0)
	global_atomic_add_x2 v[0:1], v[53:54], off offset:8
.LBB3_929:                              ;   in Loop: Header=BB3_3 Depth=1
	s_or_b64 exec, exec, s[18:19]
	s_waitcnt vmcnt(0)
	global_load_dwordx2 v[2:3], v[0:1], off offset:16
	s_waitcnt vmcnt(0)
	v_cmp_eq_u64_e32 vcc, 0, v[2:3]
	s_cbranch_vccnz .LBB3_931
; %bb.930:                              ;   in Loop: Header=BB3_3 Depth=1
	global_load_dword v53, v[0:1], off offset:24
	s_waitcnt vmcnt(0)
	v_readfirstlane_b32 s18, v53
	s_and_b32 m0, s18, 0xffffff
	global_store_dwordx2 v[2:3], v[53:54], off
	s_sendmsg sendmsg(MSG_INTERRUPT)
.LBB3_931:                              ;   in Loop: Header=BB3_3 Depth=1
	s_or_b64 exec, exec, s[16:17]
	v_add_co_u32_e32 v0, vcc, v8, v26
	v_addc_co_u32_e32 v1, vcc, 0, v9, vcc
	s_branch .LBB3_935
.LBB3_932:                              ;   in Loop: Header=BB3_935 Depth=2
	s_or_b64 exec, exec, s[16:17]
	v_readfirstlane_b32 s16, v2
	s_cmp_eq_u32 s16, 0
	s_cbranch_scc1 .LBB3_934
; %bb.933:                              ;   in Loop: Header=BB3_935 Depth=2
	s_sleep 1
	s_cbranch_execnz .LBB3_935
	s_branch .LBB3_1026
.LBB3_934:                              ;   in Loop: Header=BB3_3 Depth=1
	s_branch .LBB3_1026
.LBB3_935:                              ;   Parent Loop BB3_3 Depth=1
                                        ; =>  This Inner Loop Header: Depth=2
	v_mov_b32_e32 v2, 1
	s_and_saveexec_b64 s[16:17], s[4:5]
	s_cbranch_execz .LBB3_932
; %bb.936:                              ;   in Loop: Header=BB3_935 Depth=2
	global_load_dword v2, v[4:5], off offset:20 glc
	s_waitcnt vmcnt(0)
	buffer_wbinvl1_vol
	v_and_b32_e32 v2, 1, v2
	s_branch .LBB3_932
.LBB3_937:                              ;   in Loop: Header=BB3_3 Depth=1
	global_load_dwordx2 v[0:1], v[0:1], off
	s_and_saveexec_b64 s[16:17], s[4:5]
	s_cbranch_execz .LBB3_941
; %bb.938:                              ;   in Loop: Header=BB3_3 Depth=1
	global_load_dwordx2 v[2:3], v54, s[12:13] offset:40
	global_load_dwordx2 v[10:11], v54, s[12:13] offset:24 glc
	global_load_dwordx2 v[4:5], v54, s[12:13]
	s_waitcnt vmcnt(2)
	v_readfirstlane_b32 s18, v2
	v_readfirstlane_b32 s19, v3
	s_add_u32 s20, s18, 1
	s_addc_u32 s21, s19, 0
	s_add_u32 s4, s20, s14
	s_addc_u32 s5, s21, s15
	s_cmp_eq_u64 s[4:5], 0
	s_cselect_b32 s5, s21, s5
	s_cselect_b32 s4, s20, s4
	s_and_b64 s[14:15], s[4:5], s[18:19]
	s_mul_i32 s15, s15, 24
	s_mul_hi_u32 s18, s14, 24
	s_mul_i32 s14, s14, 24
	s_add_i32 s15, s18, s15
	v_mov_b32_e32 v2, s15
	s_waitcnt vmcnt(0)
	v_add_co_u32_e32 v6, vcc, s14, v4
	v_addc_co_u32_e32 v7, vcc, v5, v2, vcc
	v_mov_b32_e32 v8, s4
	global_store_dwordx2 v[6:7], v[10:11], off
	v_mov_b32_e32 v9, s5
	s_waitcnt vmcnt(0)
	global_atomic_cmpswap_x2 v[4:5], v54, v[8:11], s[12:13] offset:24 glc
	s_waitcnt vmcnt(0)
	v_cmp_ne_u64_e32 vcc, v[4:5], v[10:11]
	s_and_b64 exec, exec, vcc
	s_cbranch_execz .LBB3_941
; %bb.939:                              ;   in Loop: Header=BB3_3 Depth=1
	s_mov_b64 s[14:15], 0
.LBB3_940:                              ;   Parent Loop BB3_3 Depth=1
                                        ; =>  This Inner Loop Header: Depth=2
	s_sleep 1
	global_store_dwordx2 v[6:7], v[4:5], off
	v_mov_b32_e32 v2, s4
	v_mov_b32_e32 v3, s5
	s_waitcnt vmcnt(0)
	global_atomic_cmpswap_x2 v[2:3], v54, v[2:5], s[12:13] offset:24 glc
	s_waitcnt vmcnt(0)
	v_cmp_eq_u64_e32 vcc, v[2:3], v[4:5]
	v_mov_b32_e32 v5, v3
	s_or_b64 s[14:15], vcc, s[14:15]
	v_mov_b32_e32 v4, v2
	s_andn2_b64 exec, exec, s[14:15]
	s_cbranch_execnz .LBB3_940
.LBB3_941:                              ;   in Loop: Header=BB3_3 Depth=1
	s_or_b64 exec, exec, s[16:17]
	s_and_b64 vcc, exec, s[62:63]
	s_cbranch_vccz .LBB3_1117
; %bb.942:                              ;   in Loop: Header=BB3_3 Depth=1
	s_waitcnt vmcnt(0)
	v_and_b32_e32 v28, 2, v0
	v_and_b32_e32 v2, -3, v0
	v_mov_b32_e32 v3, v1
	s_mov_b64 s[16:17], 34
	s_getpc_b64 s[14:15]
	s_add_u32 s14, s14, .str.2@rel32@lo+4
	s_addc_u32 s15, s15, .str.2@rel32@hi+12
	s_branch .LBB3_944
.LBB3_943:                              ;   in Loop: Header=BB3_944 Depth=2
	s_or_b64 exec, exec, s[22:23]
	s_sub_u32 s16, s16, s18
	s_subb_u32 s17, s17, s19
	s_add_u32 s14, s14, s18
	s_addc_u32 s15, s15, s19
	s_cmp_lg_u64 s[16:17], 0
	s_cbranch_scc0 .LBB3_1115
.LBB3_944:                              ;   Parent Loop BB3_3 Depth=1
                                        ; =>  This Loop Header: Depth=2
                                        ;       Child Loop BB3_947 Depth 3
                                        ;       Child Loop BB3_955 Depth 3
	;; [unrolled: 1-line block ×11, first 2 shown]
	v_cmp_lt_u64_e64 s[4:5], s[16:17], 56
	v_cmp_gt_u64_e64 s[20:21], s[16:17], 7
	s_and_b64 s[4:5], s[4:5], exec
	s_cselect_b32 s19, s17, 0
	s_cselect_b32 s18, s16, 56
	s_add_u32 s4, s14, 8
	s_addc_u32 s5, s15, 0
	s_and_b64 vcc, exec, s[20:21]
	s_cbranch_vccnz .LBB3_948
; %bb.945:                              ;   in Loop: Header=BB3_944 Depth=2
	s_cmp_eq_u64 s[16:17], 0
	s_cbranch_scc1 .LBB3_949
; %bb.946:                              ;   in Loop: Header=BB3_944 Depth=2
	v_mov_b32_e32 v4, 0
	s_lshl_b64 s[4:5], s[18:19], 3
	s_mov_b64 s[20:21], 0
	v_mov_b32_e32 v5, 0
	s_mov_b64 s[22:23], s[14:15]
.LBB3_947:                              ;   Parent Loop BB3_3 Depth=1
                                        ;     Parent Loop BB3_944 Depth=2
                                        ; =>    This Inner Loop Header: Depth=3
	global_load_ubyte v6, v54, s[22:23]
	s_waitcnt vmcnt(0)
	v_and_b32_e32 v53, 0xffff, v6
	v_lshlrev_b64 v[6:7], s20, v[53:54]
	s_add_u32 s20, s20, 8
	s_addc_u32 s21, s21, 0
	s_add_u32 s22, s22, 1
	s_addc_u32 s23, s23, 0
	v_or_b32_e32 v4, v6, v4
	s_cmp_lg_u32 s4, s20
	v_or_b32_e32 v5, v7, v5
	s_cbranch_scc1 .LBB3_947
	s_branch .LBB3_950
.LBB3_948:                              ;   in Loop: Header=BB3_944 Depth=2
	s_mov_b32 s24, 0
	s_branch .LBB3_951
.LBB3_949:                              ;   in Loop: Header=BB3_944 Depth=2
	v_mov_b32_e32 v4, 0
	v_mov_b32_e32 v5, 0
.LBB3_950:                              ;   in Loop: Header=BB3_944 Depth=2
	s_mov_b64 s[4:5], s[14:15]
	s_mov_b32 s24, 0
	s_cbranch_execnz .LBB3_952
.LBB3_951:                              ;   in Loop: Header=BB3_944 Depth=2
	global_load_dwordx2 v[4:5], v54, s[14:15]
	s_add_i32 s24, s18, -8
.LBB3_952:                              ;   in Loop: Header=BB3_944 Depth=2
	s_add_u32 s20, s4, 8
	s_addc_u32 s21, s5, 0
	s_cmp_gt_u32 s24, 7
	s_cbranch_scc1 .LBB3_956
; %bb.953:                              ;   in Loop: Header=BB3_944 Depth=2
	s_cmp_eq_u32 s24, 0
	s_cbranch_scc1 .LBB3_957
; %bb.954:                              ;   in Loop: Header=BB3_944 Depth=2
	v_mov_b32_e32 v6, 0
	s_mov_b64 s[20:21], 0
	v_mov_b32_e32 v7, 0
	s_mov_b64 s[22:23], 0
.LBB3_955:                              ;   Parent Loop BB3_3 Depth=1
                                        ;     Parent Loop BB3_944 Depth=2
                                        ; =>    This Inner Loop Header: Depth=3
	s_add_u32 s42, s4, s22
	s_addc_u32 s43, s5, s23
	global_load_ubyte v8, v54, s[42:43]
	s_add_u32 s22, s22, 1
	s_addc_u32 s23, s23, 0
	s_waitcnt vmcnt(0)
	v_and_b32_e32 v53, 0xffff, v8
	v_lshlrev_b64 v[8:9], s20, v[53:54]
	s_add_u32 s20, s20, 8
	s_addc_u32 s21, s21, 0
	v_or_b32_e32 v6, v8, v6
	s_cmp_lg_u32 s24, s22
	v_or_b32_e32 v7, v9, v7
	s_cbranch_scc1 .LBB3_955
	s_branch .LBB3_958
.LBB3_956:                              ;   in Loop: Header=BB3_944 Depth=2
                                        ; implicit-def: $vgpr6_vgpr7
	s_mov_b32 s25, 0
	s_branch .LBB3_959
.LBB3_957:                              ;   in Loop: Header=BB3_944 Depth=2
	v_mov_b32_e32 v6, 0
	v_mov_b32_e32 v7, 0
.LBB3_958:                              ;   in Loop: Header=BB3_944 Depth=2
	s_mov_b64 s[20:21], s[4:5]
	s_mov_b32 s25, 0
	s_cbranch_execnz .LBB3_960
.LBB3_959:                              ;   in Loop: Header=BB3_944 Depth=2
	global_load_dwordx2 v[6:7], v54, s[4:5]
	s_add_i32 s25, s24, -8
.LBB3_960:                              ;   in Loop: Header=BB3_944 Depth=2
	s_add_u32 s4, s20, 8
	s_addc_u32 s5, s21, 0
	s_cmp_gt_u32 s25, 7
	s_cbranch_scc1 .LBB3_964
; %bb.961:                              ;   in Loop: Header=BB3_944 Depth=2
	s_cmp_eq_u32 s25, 0
	s_cbranch_scc1 .LBB3_965
; %bb.962:                              ;   in Loop: Header=BB3_944 Depth=2
	v_mov_b32_e32 v8, 0
	s_mov_b64 s[4:5], 0
	v_mov_b32_e32 v9, 0
	s_mov_b64 s[22:23], 0
.LBB3_963:                              ;   Parent Loop BB3_3 Depth=1
                                        ;     Parent Loop BB3_944 Depth=2
                                        ; =>    This Inner Loop Header: Depth=3
	s_add_u32 s42, s20, s22
	s_addc_u32 s43, s21, s23
	global_load_ubyte v10, v54, s[42:43]
	s_add_u32 s22, s22, 1
	s_addc_u32 s23, s23, 0
	s_waitcnt vmcnt(0)
	v_and_b32_e32 v53, 0xffff, v10
	v_lshlrev_b64 v[10:11], s4, v[53:54]
	s_add_u32 s4, s4, 8
	s_addc_u32 s5, s5, 0
	v_or_b32_e32 v8, v10, v8
	s_cmp_lg_u32 s25, s22
	v_or_b32_e32 v9, v11, v9
	s_cbranch_scc1 .LBB3_963
	s_branch .LBB3_966
.LBB3_964:                              ;   in Loop: Header=BB3_944 Depth=2
	s_mov_b32 s24, 0
	s_branch .LBB3_967
.LBB3_965:                              ;   in Loop: Header=BB3_944 Depth=2
	v_mov_b32_e32 v8, 0
	v_mov_b32_e32 v9, 0
.LBB3_966:                              ;   in Loop: Header=BB3_944 Depth=2
	s_mov_b64 s[4:5], s[20:21]
	s_mov_b32 s24, 0
	s_cbranch_execnz .LBB3_968
.LBB3_967:                              ;   in Loop: Header=BB3_944 Depth=2
	global_load_dwordx2 v[8:9], v54, s[20:21]
	s_add_i32 s24, s25, -8
.LBB3_968:                              ;   in Loop: Header=BB3_944 Depth=2
	s_add_u32 s20, s4, 8
	s_addc_u32 s21, s5, 0
	s_cmp_gt_u32 s24, 7
	s_cbranch_scc1 .LBB3_972
; %bb.969:                              ;   in Loop: Header=BB3_944 Depth=2
	s_cmp_eq_u32 s24, 0
	s_cbranch_scc1 .LBB3_973
; %bb.970:                              ;   in Loop: Header=BB3_944 Depth=2
	v_mov_b32_e32 v10, 0
	s_mov_b64 s[20:21], 0
	v_mov_b32_e32 v11, 0
	s_mov_b64 s[22:23], 0
.LBB3_971:                              ;   Parent Loop BB3_3 Depth=1
                                        ;     Parent Loop BB3_944 Depth=2
                                        ; =>    This Inner Loop Header: Depth=3
	s_add_u32 s42, s4, s22
	s_addc_u32 s43, s5, s23
	global_load_ubyte v12, v54, s[42:43]
	s_add_u32 s22, s22, 1
	s_addc_u32 s23, s23, 0
	s_waitcnt vmcnt(0)
	v_and_b32_e32 v53, 0xffff, v12
	v_lshlrev_b64 v[12:13], s20, v[53:54]
	s_add_u32 s20, s20, 8
	s_addc_u32 s21, s21, 0
	v_or_b32_e32 v10, v12, v10
	s_cmp_lg_u32 s24, s22
	v_or_b32_e32 v11, v13, v11
	s_cbranch_scc1 .LBB3_971
	s_branch .LBB3_974
.LBB3_972:                              ;   in Loop: Header=BB3_944 Depth=2
                                        ; implicit-def: $vgpr10_vgpr11
	s_mov_b32 s25, 0
	s_branch .LBB3_975
.LBB3_973:                              ;   in Loop: Header=BB3_944 Depth=2
	v_mov_b32_e32 v10, 0
	v_mov_b32_e32 v11, 0
.LBB3_974:                              ;   in Loop: Header=BB3_944 Depth=2
	s_mov_b64 s[20:21], s[4:5]
	s_mov_b32 s25, 0
	s_cbranch_execnz .LBB3_976
.LBB3_975:                              ;   in Loop: Header=BB3_944 Depth=2
	global_load_dwordx2 v[10:11], v54, s[4:5]
	s_add_i32 s25, s24, -8
.LBB3_976:                              ;   in Loop: Header=BB3_944 Depth=2
	s_add_u32 s4, s20, 8
	s_addc_u32 s5, s21, 0
	s_cmp_gt_u32 s25, 7
	s_cbranch_scc1 .LBB3_980
; %bb.977:                              ;   in Loop: Header=BB3_944 Depth=2
	s_cmp_eq_u32 s25, 0
	s_cbranch_scc1 .LBB3_981
; %bb.978:                              ;   in Loop: Header=BB3_944 Depth=2
	v_mov_b32_e32 v12, 0
	s_mov_b64 s[4:5], 0
	v_mov_b32_e32 v13, 0
	s_mov_b64 s[22:23], 0
.LBB3_979:                              ;   Parent Loop BB3_3 Depth=1
                                        ;     Parent Loop BB3_944 Depth=2
                                        ; =>    This Inner Loop Header: Depth=3
	s_add_u32 s42, s20, s22
	s_addc_u32 s43, s21, s23
	global_load_ubyte v14, v54, s[42:43]
	s_add_u32 s22, s22, 1
	s_addc_u32 s23, s23, 0
	s_waitcnt vmcnt(0)
	v_and_b32_e32 v53, 0xffff, v14
	v_lshlrev_b64 v[14:15], s4, v[53:54]
	s_add_u32 s4, s4, 8
	s_addc_u32 s5, s5, 0
	v_or_b32_e32 v12, v14, v12
	s_cmp_lg_u32 s25, s22
	v_or_b32_e32 v13, v15, v13
	s_cbranch_scc1 .LBB3_979
	s_branch .LBB3_982
.LBB3_980:                              ;   in Loop: Header=BB3_944 Depth=2
	s_mov_b32 s24, 0
	s_branch .LBB3_983
.LBB3_981:                              ;   in Loop: Header=BB3_944 Depth=2
	v_mov_b32_e32 v12, 0
	v_mov_b32_e32 v13, 0
.LBB3_982:                              ;   in Loop: Header=BB3_944 Depth=2
	s_mov_b64 s[4:5], s[20:21]
	s_mov_b32 s24, 0
	s_cbranch_execnz .LBB3_984
.LBB3_983:                              ;   in Loop: Header=BB3_944 Depth=2
	global_load_dwordx2 v[12:13], v54, s[20:21]
	s_add_i32 s24, s25, -8
.LBB3_984:                              ;   in Loop: Header=BB3_944 Depth=2
	s_add_u32 s20, s4, 8
	s_addc_u32 s21, s5, 0
	s_cmp_gt_u32 s24, 7
	s_cbranch_scc1 .LBB3_988
; %bb.985:                              ;   in Loop: Header=BB3_944 Depth=2
	s_cmp_eq_u32 s24, 0
	s_cbranch_scc1 .LBB3_989
; %bb.986:                              ;   in Loop: Header=BB3_944 Depth=2
	v_mov_b32_e32 v14, 0
	s_mov_b64 s[20:21], 0
	v_mov_b32_e32 v15, 0
	s_mov_b64 s[22:23], 0
.LBB3_987:                              ;   Parent Loop BB3_3 Depth=1
                                        ;     Parent Loop BB3_944 Depth=2
                                        ; =>    This Inner Loop Header: Depth=3
	s_add_u32 s42, s4, s22
	s_addc_u32 s43, s5, s23
	global_load_ubyte v16, v54, s[42:43]
	s_add_u32 s22, s22, 1
	s_addc_u32 s23, s23, 0
	s_waitcnt vmcnt(0)
	v_and_b32_e32 v53, 0xffff, v16
	v_lshlrev_b64 v[16:17], s20, v[53:54]
	s_add_u32 s20, s20, 8
	s_addc_u32 s21, s21, 0
	v_or_b32_e32 v14, v16, v14
	s_cmp_lg_u32 s24, s22
	v_or_b32_e32 v15, v17, v15
	s_cbranch_scc1 .LBB3_987
	s_branch .LBB3_990
.LBB3_988:                              ;   in Loop: Header=BB3_944 Depth=2
                                        ; implicit-def: $vgpr14_vgpr15
	s_mov_b32 s25, 0
	s_branch .LBB3_991
.LBB3_989:                              ;   in Loop: Header=BB3_944 Depth=2
	v_mov_b32_e32 v14, 0
	v_mov_b32_e32 v15, 0
.LBB3_990:                              ;   in Loop: Header=BB3_944 Depth=2
	s_mov_b64 s[20:21], s[4:5]
	s_mov_b32 s25, 0
	s_cbranch_execnz .LBB3_992
.LBB3_991:                              ;   in Loop: Header=BB3_944 Depth=2
	global_load_dwordx2 v[14:15], v54, s[4:5]
	s_add_i32 s25, s24, -8
.LBB3_992:                              ;   in Loop: Header=BB3_944 Depth=2
	s_cmp_gt_u32 s25, 7
	s_cbranch_scc1 .LBB3_996
; %bb.993:                              ;   in Loop: Header=BB3_944 Depth=2
	s_cmp_eq_u32 s25, 0
	s_cbranch_scc1 .LBB3_997
; %bb.994:                              ;   in Loop: Header=BB3_944 Depth=2
	v_mov_b32_e32 v16, 0
	s_mov_b64 s[4:5], 0
	v_mov_b32_e32 v17, 0
	s_mov_b64 s[22:23], s[20:21]
.LBB3_995:                              ;   Parent Loop BB3_3 Depth=1
                                        ;     Parent Loop BB3_944 Depth=2
                                        ; =>    This Inner Loop Header: Depth=3
	global_load_ubyte v18, v54, s[22:23]
	s_add_i32 s25, s25, -1
	s_waitcnt vmcnt(0)
	v_and_b32_e32 v53, 0xffff, v18
	v_lshlrev_b64 v[18:19], s4, v[53:54]
	s_add_u32 s4, s4, 8
	s_addc_u32 s5, s5, 0
	s_add_u32 s22, s22, 1
	s_addc_u32 s23, s23, 0
	v_or_b32_e32 v16, v18, v16
	s_cmp_lg_u32 s25, 0
	v_or_b32_e32 v17, v19, v17
	s_cbranch_scc1 .LBB3_995
	s_branch .LBB3_998
.LBB3_996:                              ;   in Loop: Header=BB3_944 Depth=2
	s_branch .LBB3_999
.LBB3_997:                              ;   in Loop: Header=BB3_944 Depth=2
	v_mov_b32_e32 v16, 0
	v_mov_b32_e32 v17, 0
.LBB3_998:                              ;   in Loop: Header=BB3_944 Depth=2
	s_cbranch_execnz .LBB3_1000
.LBB3_999:                              ;   in Loop: Header=BB3_944 Depth=2
	global_load_dwordx2 v[16:17], v54, s[20:21]
.LBB3_1000:                             ;   in Loop: Header=BB3_944 Depth=2
	v_readfirstlane_b32 s4, v47
	v_mov_b32_e32 v22, 0
	v_mov_b32_e32 v23, 0
	v_cmp_eq_u32_e64 s[4:5], s4, v47
	s_and_saveexec_b64 s[20:21], s[4:5]
	s_cbranch_execz .LBB3_1006
; %bb.1001:                             ;   in Loop: Header=BB3_944 Depth=2
	global_load_dwordx2 v[20:21], v54, s[12:13] offset:24 glc
	s_waitcnt vmcnt(0)
	buffer_wbinvl1_vol
	global_load_dwordx2 v[18:19], v54, s[12:13] offset:40
	global_load_dwordx2 v[22:23], v54, s[12:13]
	s_waitcnt vmcnt(1)
	v_and_b32_e32 v18, v18, v20
	v_and_b32_e32 v19, v19, v21
	v_mul_lo_u32 v19, v19, 24
	v_mul_hi_u32 v29, v18, 24
	v_mul_lo_u32 v18, v18, 24
	v_add_u32_e32 v19, v29, v19
	s_waitcnt vmcnt(0)
	v_add_co_u32_e32 v18, vcc, v22, v18
	v_addc_co_u32_e32 v19, vcc, v23, v19, vcc
	global_load_dwordx2 v[18:19], v[18:19], off glc
	s_waitcnt vmcnt(0)
	global_atomic_cmpswap_x2 v[22:23], v54, v[18:21], s[12:13] offset:24 glc
	s_waitcnt vmcnt(0)
	buffer_wbinvl1_vol
	v_cmp_ne_u64_e32 vcc, v[22:23], v[20:21]
	s_and_saveexec_b64 s[22:23], vcc
	s_cbranch_execz .LBB3_1005
; %bb.1002:                             ;   in Loop: Header=BB3_944 Depth=2
	s_mov_b64 s[24:25], 0
.LBB3_1003:                             ;   Parent Loop BB3_3 Depth=1
                                        ;     Parent Loop BB3_944 Depth=2
                                        ; =>    This Inner Loop Header: Depth=3
	s_sleep 1
	global_load_dwordx2 v[18:19], v54, s[12:13] offset:40
	global_load_dwordx2 v[29:30], v54, s[12:13]
	v_mov_b32_e32 v20, v22
	v_mov_b32_e32 v21, v23
	s_waitcnt vmcnt(1)
	v_and_b32_e32 v18, v18, v20
	s_waitcnt vmcnt(0)
	v_mad_u64_u32 v[22:23], s[42:43], v18, 24, v[29:30]
	v_and_b32_e32 v19, v19, v21
	v_mov_b32_e32 v18, v23
	v_mad_u64_u32 v[18:19], s[42:43], v19, 24, v[18:19]
	v_mov_b32_e32 v23, v18
	global_load_dwordx2 v[18:19], v[22:23], off glc
	s_waitcnt vmcnt(0)
	global_atomic_cmpswap_x2 v[22:23], v54, v[18:21], s[12:13] offset:24 glc
	s_waitcnt vmcnt(0)
	buffer_wbinvl1_vol
	v_cmp_eq_u64_e32 vcc, v[22:23], v[20:21]
	s_or_b64 s[24:25], vcc, s[24:25]
	s_andn2_b64 exec, exec, s[24:25]
	s_cbranch_execnz .LBB3_1003
; %bb.1004:                             ;   in Loop: Header=BB3_944 Depth=2
	s_or_b64 exec, exec, s[24:25]
.LBB3_1005:                             ;   in Loop: Header=BB3_944 Depth=2
	s_or_b64 exec, exec, s[22:23]
.LBB3_1006:                             ;   in Loop: Header=BB3_944 Depth=2
	s_or_b64 exec, exec, s[20:21]
	global_load_dwordx2 v[29:30], v54, s[12:13] offset:40
	global_load_dwordx4 v[18:21], v54, s[12:13]
	v_readfirstlane_b32 s21, v23
	v_readfirstlane_b32 s20, v22
	s_mov_b64 s[22:23], exec
	s_waitcnt vmcnt(1)
	v_readfirstlane_b32 s24, v29
	v_readfirstlane_b32 s25, v30
	s_and_b64 s[24:25], s[24:25], s[20:21]
	s_mul_i32 s41, s25, 24
	s_mul_hi_u32 s42, s24, 24
	s_mul_i32 s43, s24, 24
	s_add_i32 s41, s42, s41
	v_mov_b32_e32 v23, s41
	s_waitcnt vmcnt(0)
	v_add_co_u32_e32 v22, vcc, s43, v18
	v_addc_co_u32_e32 v23, vcc, v19, v23, vcc
	s_and_saveexec_b64 s[42:43], s[4:5]
	s_cbranch_execz .LBB3_1008
; %bb.1007:                             ;   in Loop: Header=BB3_944 Depth=2
	v_mov_b32_e32 v38, s23
	v_mov_b32_e32 v37, s22
	global_store_dwordx4 v[22:23], v[37:40], off offset:8
.LBB3_1008:                             ;   in Loop: Header=BB3_944 Depth=2
	s_or_b64 exec, exec, s[42:43]
	s_lshl_b64 s[22:23], s[24:25], 12
	v_mov_b32_e32 v29, s23
	v_add_co_u32_e32 v20, vcc, s22, v20
	v_addc_co_u32_e32 v21, vcc, v21, v29, vcc
	v_cmp_lt_u64_e64 vcc, s[16:17], 57
	s_lshl_b32 s22, s18, 2
	v_cndmask_b32_e32 v29, 0, v28, vcc
	s_add_i32 s22, s22, 28
	v_and_b32_e32 v2, 0xffffff1f, v2
	s_and_b32 s22, s22, 0x1e0
	v_or_b32_e32 v2, v2, v29
	v_or_b32_e32 v2, s22, v2
	v_readfirstlane_b32 s22, v20
	v_readfirstlane_b32 s23, v21
	s_nop 4
	global_store_dwordx4 v26, v[2:5], s[22:23]
	global_store_dwordx4 v26, v[6:9], s[22:23] offset:16
	global_store_dwordx4 v26, v[10:13], s[22:23] offset:32
	;; [unrolled: 1-line block ×3, first 2 shown]
	s_and_saveexec_b64 s[22:23], s[4:5]
	s_cbranch_execz .LBB3_1016
; %bb.1009:                             ;   in Loop: Header=BB3_944 Depth=2
	global_load_dwordx2 v[10:11], v54, s[12:13] offset:32 glc
	global_load_dwordx2 v[2:3], v54, s[12:13] offset:40
	v_mov_b32_e32 v8, s20
	v_mov_b32_e32 v9, s21
	s_waitcnt vmcnt(0)
	v_readfirstlane_b32 s24, v2
	v_readfirstlane_b32 s25, v3
	s_and_b64 s[24:25], s[24:25], s[20:21]
	s_mul_i32 s25, s25, 24
	s_mul_hi_u32 s41, s24, 24
	s_mul_i32 s24, s24, 24
	s_add_i32 s25, s41, s25
	v_mov_b32_e32 v2, s25
	v_add_co_u32_e32 v6, vcc, s24, v18
	v_addc_co_u32_e32 v7, vcc, v19, v2, vcc
	global_store_dwordx2 v[6:7], v[10:11], off
	s_waitcnt vmcnt(0)
	global_atomic_cmpswap_x2 v[4:5], v54, v[8:11], s[12:13] offset:32 glc
	s_waitcnt vmcnt(0)
	v_cmp_ne_u64_e32 vcc, v[4:5], v[10:11]
	s_and_saveexec_b64 s[24:25], vcc
	s_cbranch_execz .LBB3_1012
; %bb.1010:                             ;   in Loop: Header=BB3_944 Depth=2
	s_mov_b64 s[42:43], 0
.LBB3_1011:                             ;   Parent Loop BB3_3 Depth=1
                                        ;     Parent Loop BB3_944 Depth=2
                                        ; =>    This Inner Loop Header: Depth=3
	s_sleep 1
	global_store_dwordx2 v[6:7], v[4:5], off
	v_mov_b32_e32 v2, s20
	v_mov_b32_e32 v3, s21
	s_waitcnt vmcnt(0)
	global_atomic_cmpswap_x2 v[2:3], v54, v[2:5], s[12:13] offset:32 glc
	s_waitcnt vmcnt(0)
	v_cmp_eq_u64_e32 vcc, v[2:3], v[4:5]
	v_mov_b32_e32 v5, v3
	s_or_b64 s[42:43], vcc, s[42:43]
	v_mov_b32_e32 v4, v2
	s_andn2_b64 exec, exec, s[42:43]
	s_cbranch_execnz .LBB3_1011
.LBB3_1012:                             ;   in Loop: Header=BB3_944 Depth=2
	s_or_b64 exec, exec, s[24:25]
	global_load_dwordx2 v[2:3], v54, s[12:13] offset:16
	s_mov_b64 s[42:43], exec
	v_mbcnt_lo_u32_b32 v4, s42, 0
	v_mbcnt_hi_u32_b32 v4, s43, v4
	v_cmp_eq_u32_e32 vcc, 0, v4
	s_and_saveexec_b64 s[24:25], vcc
	s_cbranch_execz .LBB3_1014
; %bb.1013:                             ;   in Loop: Header=BB3_944 Depth=2
	s_bcnt1_i32_b64 s41, s[42:43]
	v_mov_b32_e32 v53, s41
	s_waitcnt vmcnt(0)
	global_atomic_add_x2 v[2:3], v[53:54], off offset:8
.LBB3_1014:                             ;   in Loop: Header=BB3_944 Depth=2
	s_or_b64 exec, exec, s[24:25]
	s_waitcnt vmcnt(0)
	global_load_dwordx2 v[4:5], v[2:3], off offset:16
	s_waitcnt vmcnt(0)
	v_cmp_eq_u64_e32 vcc, 0, v[4:5]
	s_cbranch_vccnz .LBB3_1016
; %bb.1015:                             ;   in Loop: Header=BB3_944 Depth=2
	global_load_dword v53, v[2:3], off offset:24
	s_waitcnt vmcnt(0)
	v_readfirstlane_b32 s24, v53
	s_and_b32 m0, s24, 0xffffff
	global_store_dwordx2 v[4:5], v[53:54], off
	s_sendmsg sendmsg(MSG_INTERRUPT)
.LBB3_1016:                             ;   in Loop: Header=BB3_944 Depth=2
	s_or_b64 exec, exec, s[22:23]
	v_add_co_u32_e32 v2, vcc, v20, v26
	v_addc_co_u32_e32 v3, vcc, 0, v21, vcc
	s_branch .LBB3_1020
.LBB3_1017:                             ;   in Loop: Header=BB3_1020 Depth=3
	s_or_b64 exec, exec, s[22:23]
	v_readfirstlane_b32 s22, v4
	s_cmp_eq_u32 s22, 0
	s_cbranch_scc1 .LBB3_1019
; %bb.1018:                             ;   in Loop: Header=BB3_1020 Depth=3
	s_sleep 1
	s_cbranch_execnz .LBB3_1020
	s_branch .LBB3_1022
.LBB3_1019:                             ;   in Loop: Header=BB3_944 Depth=2
	s_branch .LBB3_1022
.LBB3_1020:                             ;   Parent Loop BB3_3 Depth=1
                                        ;     Parent Loop BB3_944 Depth=2
                                        ; =>    This Inner Loop Header: Depth=3
	v_mov_b32_e32 v4, 1
	s_and_saveexec_b64 s[22:23], s[4:5]
	s_cbranch_execz .LBB3_1017
; %bb.1021:                             ;   in Loop: Header=BB3_1020 Depth=3
	global_load_dword v4, v[22:23], off offset:20 glc
	s_waitcnt vmcnt(0)
	buffer_wbinvl1_vol
	v_and_b32_e32 v4, 1, v4
	s_branch .LBB3_1017
.LBB3_1022:                             ;   in Loop: Header=BB3_944 Depth=2
	global_load_dwordx2 v[2:3], v[2:3], off
	s_and_saveexec_b64 s[22:23], s[4:5]
	s_cbranch_execz .LBB3_943
; %bb.1023:                             ;   in Loop: Header=BB3_944 Depth=2
	global_load_dwordx2 v[4:5], v54, s[12:13] offset:40
	global_load_dwordx2 v[12:13], v54, s[12:13] offset:24 glc
	global_load_dwordx2 v[6:7], v54, s[12:13]
	s_waitcnt vmcnt(2)
	v_readfirstlane_b32 s24, v4
	v_readfirstlane_b32 s25, v5
	s_add_u32 s41, s24, 1
	s_addc_u32 s42, s25, 0
	s_add_u32 s4, s41, s20
	s_addc_u32 s5, s42, s21
	s_cmp_eq_u64 s[4:5], 0
	s_cselect_b32 s5, s42, s5
	s_cselect_b32 s4, s41, s4
	s_and_b64 s[20:21], s[4:5], s[24:25]
	s_mul_i32 s21, s21, 24
	s_mul_hi_u32 s24, s20, 24
	s_mul_i32 s20, s20, 24
	s_add_i32 s21, s24, s21
	v_mov_b32_e32 v4, s21
	s_waitcnt vmcnt(0)
	v_add_co_u32_e32 v8, vcc, s20, v6
	v_addc_co_u32_e32 v9, vcc, v7, v4, vcc
	v_mov_b32_e32 v10, s4
	global_store_dwordx2 v[8:9], v[12:13], off
	v_mov_b32_e32 v11, s5
	s_waitcnt vmcnt(0)
	global_atomic_cmpswap_x2 v[6:7], v54, v[10:13], s[12:13] offset:24 glc
	s_waitcnt vmcnt(0)
	v_cmp_ne_u64_e32 vcc, v[6:7], v[12:13]
	s_and_b64 exec, exec, vcc
	s_cbranch_execz .LBB3_943
; %bb.1024:                             ;   in Loop: Header=BB3_944 Depth=2
	s_mov_b64 s[20:21], 0
.LBB3_1025:                             ;   Parent Loop BB3_3 Depth=1
                                        ;     Parent Loop BB3_944 Depth=2
                                        ; =>    This Inner Loop Header: Depth=3
	s_sleep 1
	global_store_dwordx2 v[8:9], v[6:7], off
	v_mov_b32_e32 v4, s4
	v_mov_b32_e32 v5, s5
	s_waitcnt vmcnt(0)
	global_atomic_cmpswap_x2 v[4:5], v54, v[4:7], s[12:13] offset:24 glc
	s_waitcnt vmcnt(0)
	v_cmp_eq_u64_e32 vcc, v[4:5], v[6:7]
	v_mov_b32_e32 v7, v5
	s_or_b64 s[20:21], vcc, s[20:21]
	v_mov_b32_e32 v6, v4
	s_andn2_b64 exec, exec, s[20:21]
	s_cbranch_execnz .LBB3_1025
	s_branch .LBB3_943
.LBB3_1026:                             ;   in Loop: Header=BB3_3 Depth=1
	global_load_dwordx2 v[0:1], v[0:1], off
	s_and_saveexec_b64 s[16:17], s[4:5]
	s_cbranch_execz .LBB3_1030
; %bb.1027:                             ;   in Loop: Header=BB3_3 Depth=1
	global_load_dwordx2 v[2:3], v54, s[12:13] offset:40
	global_load_dwordx2 v[10:11], v54, s[12:13] offset:24 glc
	global_load_dwordx2 v[4:5], v54, s[12:13]
	s_waitcnt vmcnt(2)
	v_readfirstlane_b32 s18, v2
	v_readfirstlane_b32 s19, v3
	s_add_u32 s20, s18, 1
	s_addc_u32 s21, s19, 0
	s_add_u32 s4, s20, s14
	s_addc_u32 s5, s21, s15
	s_cmp_eq_u64 s[4:5], 0
	s_cselect_b32 s5, s21, s5
	s_cselect_b32 s4, s20, s4
	s_and_b64 s[14:15], s[4:5], s[18:19]
	s_mul_i32 s15, s15, 24
	s_mul_hi_u32 s18, s14, 24
	s_mul_i32 s14, s14, 24
	s_add_i32 s15, s18, s15
	v_mov_b32_e32 v2, s15
	s_waitcnt vmcnt(0)
	v_add_co_u32_e32 v6, vcc, s14, v4
	v_addc_co_u32_e32 v7, vcc, v5, v2, vcc
	v_mov_b32_e32 v8, s4
	global_store_dwordx2 v[6:7], v[10:11], off
	v_mov_b32_e32 v9, s5
	s_waitcnt vmcnt(0)
	global_atomic_cmpswap_x2 v[4:5], v54, v[8:11], s[12:13] offset:24 glc
	s_waitcnt vmcnt(0)
	v_cmp_ne_u64_e32 vcc, v[4:5], v[10:11]
	s_and_b64 exec, exec, vcc
	s_cbranch_execz .LBB3_1030
; %bb.1028:                             ;   in Loop: Header=BB3_3 Depth=1
	s_mov_b64 s[14:15], 0
.LBB3_1029:                             ;   Parent Loop BB3_3 Depth=1
                                        ; =>  This Inner Loop Header: Depth=2
	s_sleep 1
	global_store_dwordx2 v[6:7], v[4:5], off
	v_mov_b32_e32 v2, s4
	v_mov_b32_e32 v3, s5
	s_waitcnt vmcnt(0)
	global_atomic_cmpswap_x2 v[2:3], v54, v[2:5], s[12:13] offset:24 glc
	s_waitcnt vmcnt(0)
	v_cmp_eq_u64_e32 vcc, v[2:3], v[4:5]
	v_mov_b32_e32 v5, v3
	s_or_b64 s[14:15], vcc, s[14:15]
	v_mov_b32_e32 v4, v2
	s_andn2_b64 exec, exec, s[14:15]
	s_cbranch_execnz .LBB3_1029
.LBB3_1030:                             ;   in Loop: Header=BB3_3 Depth=1
	s_or_b64 exec, exec, s[16:17]
	s_and_b64 vcc, exec, s[60:61]
	s_cbranch_vccz .LBB3_1224
; %bb.1031:                             ;   in Loop: Header=BB3_3 Depth=1
	s_waitcnt vmcnt(0)
	v_and_b32_e32 v28, 2, v0
	v_and_b32_e32 v2, -3, v0
	v_mov_b32_e32 v3, v1
	s_mov_b64 s[16:17], 34
	s_getpc_b64 s[14:15]
	s_add_u32 s14, s14, .str@rel32@lo+4
	s_addc_u32 s15, s15, .str@rel32@hi+12
	s_branch .LBB3_1033
.LBB3_1032:                             ;   in Loop: Header=BB3_1033 Depth=2
	s_or_b64 exec, exec, s[22:23]
	s_sub_u32 s16, s16, s18
	s_subb_u32 s17, s17, s19
	s_add_u32 s14, s14, s18
	s_addc_u32 s15, s15, s19
	s_cmp_lg_u64 s[16:17], 0
	s_cbranch_scc0 .LBB3_1116
.LBB3_1033:                             ;   Parent Loop BB3_3 Depth=1
                                        ; =>  This Loop Header: Depth=2
                                        ;       Child Loop BB3_1036 Depth 3
                                        ;       Child Loop BB3_1044 Depth 3
	;; [unrolled: 1-line block ×11, first 2 shown]
	v_cmp_lt_u64_e64 s[4:5], s[16:17], 56
	v_cmp_gt_u64_e64 s[20:21], s[16:17], 7
	s_and_b64 s[4:5], s[4:5], exec
	s_cselect_b32 s19, s17, 0
	s_cselect_b32 s18, s16, 56
	s_add_u32 s4, s14, 8
	s_addc_u32 s5, s15, 0
	s_and_b64 vcc, exec, s[20:21]
	s_cbranch_vccnz .LBB3_1037
; %bb.1034:                             ;   in Loop: Header=BB3_1033 Depth=2
	s_cmp_eq_u64 s[16:17], 0
	s_cbranch_scc1 .LBB3_1038
; %bb.1035:                             ;   in Loop: Header=BB3_1033 Depth=2
	v_mov_b32_e32 v4, 0
	s_lshl_b64 s[4:5], s[18:19], 3
	s_mov_b64 s[20:21], 0
	v_mov_b32_e32 v5, 0
	s_mov_b64 s[22:23], s[14:15]
.LBB3_1036:                             ;   Parent Loop BB3_3 Depth=1
                                        ;     Parent Loop BB3_1033 Depth=2
                                        ; =>    This Inner Loop Header: Depth=3
	global_load_ubyte v6, v54, s[22:23]
	s_waitcnt vmcnt(0)
	v_and_b32_e32 v53, 0xffff, v6
	v_lshlrev_b64 v[6:7], s20, v[53:54]
	s_add_u32 s20, s20, 8
	s_addc_u32 s21, s21, 0
	s_add_u32 s22, s22, 1
	s_addc_u32 s23, s23, 0
	v_or_b32_e32 v4, v6, v4
	s_cmp_lg_u32 s4, s20
	v_or_b32_e32 v5, v7, v5
	s_cbranch_scc1 .LBB3_1036
	s_branch .LBB3_1039
.LBB3_1037:                             ;   in Loop: Header=BB3_1033 Depth=2
	s_mov_b32 s24, 0
	s_branch .LBB3_1040
.LBB3_1038:                             ;   in Loop: Header=BB3_1033 Depth=2
	v_mov_b32_e32 v4, 0
	v_mov_b32_e32 v5, 0
.LBB3_1039:                             ;   in Loop: Header=BB3_1033 Depth=2
	s_mov_b64 s[4:5], s[14:15]
	s_mov_b32 s24, 0
	s_cbranch_execnz .LBB3_1041
.LBB3_1040:                             ;   in Loop: Header=BB3_1033 Depth=2
	global_load_dwordx2 v[4:5], v54, s[14:15]
	s_add_i32 s24, s18, -8
.LBB3_1041:                             ;   in Loop: Header=BB3_1033 Depth=2
	s_add_u32 s20, s4, 8
	s_addc_u32 s21, s5, 0
	s_cmp_gt_u32 s24, 7
	s_cbranch_scc1 .LBB3_1045
; %bb.1042:                             ;   in Loop: Header=BB3_1033 Depth=2
	s_cmp_eq_u32 s24, 0
	s_cbranch_scc1 .LBB3_1046
; %bb.1043:                             ;   in Loop: Header=BB3_1033 Depth=2
	v_mov_b32_e32 v6, 0
	s_mov_b64 s[20:21], 0
	v_mov_b32_e32 v7, 0
	s_mov_b64 s[22:23], 0
.LBB3_1044:                             ;   Parent Loop BB3_3 Depth=1
                                        ;     Parent Loop BB3_1033 Depth=2
                                        ; =>    This Inner Loop Header: Depth=3
	s_add_u32 s42, s4, s22
	s_addc_u32 s43, s5, s23
	global_load_ubyte v8, v54, s[42:43]
	s_add_u32 s22, s22, 1
	s_addc_u32 s23, s23, 0
	s_waitcnt vmcnt(0)
	v_and_b32_e32 v53, 0xffff, v8
	v_lshlrev_b64 v[8:9], s20, v[53:54]
	s_add_u32 s20, s20, 8
	s_addc_u32 s21, s21, 0
	v_or_b32_e32 v6, v8, v6
	s_cmp_lg_u32 s24, s22
	v_or_b32_e32 v7, v9, v7
	s_cbranch_scc1 .LBB3_1044
	s_branch .LBB3_1047
.LBB3_1045:                             ;   in Loop: Header=BB3_1033 Depth=2
                                        ; implicit-def: $vgpr6_vgpr7
	s_mov_b32 s25, 0
	s_branch .LBB3_1048
.LBB3_1046:                             ;   in Loop: Header=BB3_1033 Depth=2
	v_mov_b32_e32 v6, 0
	v_mov_b32_e32 v7, 0
.LBB3_1047:                             ;   in Loop: Header=BB3_1033 Depth=2
	s_mov_b64 s[20:21], s[4:5]
	s_mov_b32 s25, 0
	s_cbranch_execnz .LBB3_1049
.LBB3_1048:                             ;   in Loop: Header=BB3_1033 Depth=2
	global_load_dwordx2 v[6:7], v54, s[4:5]
	s_add_i32 s25, s24, -8
.LBB3_1049:                             ;   in Loop: Header=BB3_1033 Depth=2
	s_add_u32 s4, s20, 8
	s_addc_u32 s5, s21, 0
	s_cmp_gt_u32 s25, 7
	s_cbranch_scc1 .LBB3_1053
; %bb.1050:                             ;   in Loop: Header=BB3_1033 Depth=2
	s_cmp_eq_u32 s25, 0
	s_cbranch_scc1 .LBB3_1054
; %bb.1051:                             ;   in Loop: Header=BB3_1033 Depth=2
	v_mov_b32_e32 v8, 0
	s_mov_b64 s[4:5], 0
	v_mov_b32_e32 v9, 0
	s_mov_b64 s[22:23], 0
.LBB3_1052:                             ;   Parent Loop BB3_3 Depth=1
                                        ;     Parent Loop BB3_1033 Depth=2
                                        ; =>    This Inner Loop Header: Depth=3
	s_add_u32 s42, s20, s22
	s_addc_u32 s43, s21, s23
	global_load_ubyte v10, v54, s[42:43]
	s_add_u32 s22, s22, 1
	s_addc_u32 s23, s23, 0
	s_waitcnt vmcnt(0)
	v_and_b32_e32 v53, 0xffff, v10
	v_lshlrev_b64 v[10:11], s4, v[53:54]
	s_add_u32 s4, s4, 8
	s_addc_u32 s5, s5, 0
	v_or_b32_e32 v8, v10, v8
	s_cmp_lg_u32 s25, s22
	v_or_b32_e32 v9, v11, v9
	s_cbranch_scc1 .LBB3_1052
	s_branch .LBB3_1055
.LBB3_1053:                             ;   in Loop: Header=BB3_1033 Depth=2
	s_mov_b32 s24, 0
	s_branch .LBB3_1056
.LBB3_1054:                             ;   in Loop: Header=BB3_1033 Depth=2
	v_mov_b32_e32 v8, 0
	v_mov_b32_e32 v9, 0
.LBB3_1055:                             ;   in Loop: Header=BB3_1033 Depth=2
	s_mov_b64 s[4:5], s[20:21]
	s_mov_b32 s24, 0
	s_cbranch_execnz .LBB3_1057
.LBB3_1056:                             ;   in Loop: Header=BB3_1033 Depth=2
	global_load_dwordx2 v[8:9], v54, s[20:21]
	s_add_i32 s24, s25, -8
.LBB3_1057:                             ;   in Loop: Header=BB3_1033 Depth=2
	s_add_u32 s20, s4, 8
	s_addc_u32 s21, s5, 0
	s_cmp_gt_u32 s24, 7
	s_cbranch_scc1 .LBB3_1061
; %bb.1058:                             ;   in Loop: Header=BB3_1033 Depth=2
	s_cmp_eq_u32 s24, 0
	s_cbranch_scc1 .LBB3_1062
; %bb.1059:                             ;   in Loop: Header=BB3_1033 Depth=2
	v_mov_b32_e32 v10, 0
	s_mov_b64 s[20:21], 0
	v_mov_b32_e32 v11, 0
	s_mov_b64 s[22:23], 0
.LBB3_1060:                             ;   Parent Loop BB3_3 Depth=1
                                        ;     Parent Loop BB3_1033 Depth=2
                                        ; =>    This Inner Loop Header: Depth=3
	s_add_u32 s42, s4, s22
	s_addc_u32 s43, s5, s23
	global_load_ubyte v12, v54, s[42:43]
	s_add_u32 s22, s22, 1
	s_addc_u32 s23, s23, 0
	s_waitcnt vmcnt(0)
	v_and_b32_e32 v53, 0xffff, v12
	v_lshlrev_b64 v[12:13], s20, v[53:54]
	s_add_u32 s20, s20, 8
	s_addc_u32 s21, s21, 0
	v_or_b32_e32 v10, v12, v10
	s_cmp_lg_u32 s24, s22
	v_or_b32_e32 v11, v13, v11
	s_cbranch_scc1 .LBB3_1060
	s_branch .LBB3_1063
.LBB3_1061:                             ;   in Loop: Header=BB3_1033 Depth=2
                                        ; implicit-def: $vgpr10_vgpr11
	s_mov_b32 s25, 0
	s_branch .LBB3_1064
.LBB3_1062:                             ;   in Loop: Header=BB3_1033 Depth=2
	v_mov_b32_e32 v10, 0
	v_mov_b32_e32 v11, 0
.LBB3_1063:                             ;   in Loop: Header=BB3_1033 Depth=2
	s_mov_b64 s[20:21], s[4:5]
	s_mov_b32 s25, 0
	s_cbranch_execnz .LBB3_1065
.LBB3_1064:                             ;   in Loop: Header=BB3_1033 Depth=2
	global_load_dwordx2 v[10:11], v54, s[4:5]
	s_add_i32 s25, s24, -8
.LBB3_1065:                             ;   in Loop: Header=BB3_1033 Depth=2
	s_add_u32 s4, s20, 8
	s_addc_u32 s5, s21, 0
	s_cmp_gt_u32 s25, 7
	s_cbranch_scc1 .LBB3_1069
; %bb.1066:                             ;   in Loop: Header=BB3_1033 Depth=2
	s_cmp_eq_u32 s25, 0
	s_cbranch_scc1 .LBB3_1070
; %bb.1067:                             ;   in Loop: Header=BB3_1033 Depth=2
	v_mov_b32_e32 v12, 0
	s_mov_b64 s[4:5], 0
	v_mov_b32_e32 v13, 0
	s_mov_b64 s[22:23], 0
.LBB3_1068:                             ;   Parent Loop BB3_3 Depth=1
                                        ;     Parent Loop BB3_1033 Depth=2
                                        ; =>    This Inner Loop Header: Depth=3
	s_add_u32 s42, s20, s22
	s_addc_u32 s43, s21, s23
	global_load_ubyte v14, v54, s[42:43]
	s_add_u32 s22, s22, 1
	s_addc_u32 s23, s23, 0
	s_waitcnt vmcnt(0)
	v_and_b32_e32 v53, 0xffff, v14
	v_lshlrev_b64 v[14:15], s4, v[53:54]
	s_add_u32 s4, s4, 8
	s_addc_u32 s5, s5, 0
	v_or_b32_e32 v12, v14, v12
	s_cmp_lg_u32 s25, s22
	v_or_b32_e32 v13, v15, v13
	s_cbranch_scc1 .LBB3_1068
	s_branch .LBB3_1071
.LBB3_1069:                             ;   in Loop: Header=BB3_1033 Depth=2
	s_mov_b32 s24, 0
	s_branch .LBB3_1072
.LBB3_1070:                             ;   in Loop: Header=BB3_1033 Depth=2
	v_mov_b32_e32 v12, 0
	v_mov_b32_e32 v13, 0
.LBB3_1071:                             ;   in Loop: Header=BB3_1033 Depth=2
	s_mov_b64 s[4:5], s[20:21]
	s_mov_b32 s24, 0
	s_cbranch_execnz .LBB3_1073
.LBB3_1072:                             ;   in Loop: Header=BB3_1033 Depth=2
	global_load_dwordx2 v[12:13], v54, s[20:21]
	s_add_i32 s24, s25, -8
.LBB3_1073:                             ;   in Loop: Header=BB3_1033 Depth=2
	s_add_u32 s20, s4, 8
	s_addc_u32 s21, s5, 0
	s_cmp_gt_u32 s24, 7
	s_cbranch_scc1 .LBB3_1077
; %bb.1074:                             ;   in Loop: Header=BB3_1033 Depth=2
	s_cmp_eq_u32 s24, 0
	s_cbranch_scc1 .LBB3_1078
; %bb.1075:                             ;   in Loop: Header=BB3_1033 Depth=2
	v_mov_b32_e32 v14, 0
	s_mov_b64 s[20:21], 0
	v_mov_b32_e32 v15, 0
	s_mov_b64 s[22:23], 0
.LBB3_1076:                             ;   Parent Loop BB3_3 Depth=1
                                        ;     Parent Loop BB3_1033 Depth=2
                                        ; =>    This Inner Loop Header: Depth=3
	s_add_u32 s42, s4, s22
	s_addc_u32 s43, s5, s23
	global_load_ubyte v16, v54, s[42:43]
	s_add_u32 s22, s22, 1
	s_addc_u32 s23, s23, 0
	s_waitcnt vmcnt(0)
	v_and_b32_e32 v53, 0xffff, v16
	v_lshlrev_b64 v[16:17], s20, v[53:54]
	s_add_u32 s20, s20, 8
	s_addc_u32 s21, s21, 0
	v_or_b32_e32 v14, v16, v14
	s_cmp_lg_u32 s24, s22
	v_or_b32_e32 v15, v17, v15
	s_cbranch_scc1 .LBB3_1076
	s_branch .LBB3_1079
.LBB3_1077:                             ;   in Loop: Header=BB3_1033 Depth=2
                                        ; implicit-def: $vgpr14_vgpr15
	s_mov_b32 s25, 0
	s_branch .LBB3_1080
.LBB3_1078:                             ;   in Loop: Header=BB3_1033 Depth=2
	v_mov_b32_e32 v14, 0
	v_mov_b32_e32 v15, 0
.LBB3_1079:                             ;   in Loop: Header=BB3_1033 Depth=2
	s_mov_b64 s[20:21], s[4:5]
	s_mov_b32 s25, 0
	s_cbranch_execnz .LBB3_1081
.LBB3_1080:                             ;   in Loop: Header=BB3_1033 Depth=2
	global_load_dwordx2 v[14:15], v54, s[4:5]
	s_add_i32 s25, s24, -8
.LBB3_1081:                             ;   in Loop: Header=BB3_1033 Depth=2
	s_cmp_gt_u32 s25, 7
	s_cbranch_scc1 .LBB3_1085
; %bb.1082:                             ;   in Loop: Header=BB3_1033 Depth=2
	s_cmp_eq_u32 s25, 0
	s_cbranch_scc1 .LBB3_1086
; %bb.1083:                             ;   in Loop: Header=BB3_1033 Depth=2
	v_mov_b32_e32 v16, 0
	s_mov_b64 s[4:5], 0
	v_mov_b32_e32 v17, 0
	s_mov_b64 s[22:23], s[20:21]
.LBB3_1084:                             ;   Parent Loop BB3_3 Depth=1
                                        ;     Parent Loop BB3_1033 Depth=2
                                        ; =>    This Inner Loop Header: Depth=3
	global_load_ubyte v18, v54, s[22:23]
	s_add_i32 s25, s25, -1
	s_waitcnt vmcnt(0)
	v_and_b32_e32 v53, 0xffff, v18
	v_lshlrev_b64 v[18:19], s4, v[53:54]
	s_add_u32 s4, s4, 8
	s_addc_u32 s5, s5, 0
	s_add_u32 s22, s22, 1
	s_addc_u32 s23, s23, 0
	v_or_b32_e32 v16, v18, v16
	s_cmp_lg_u32 s25, 0
	v_or_b32_e32 v17, v19, v17
	s_cbranch_scc1 .LBB3_1084
	s_branch .LBB3_1087
.LBB3_1085:                             ;   in Loop: Header=BB3_1033 Depth=2
	s_branch .LBB3_1088
.LBB3_1086:                             ;   in Loop: Header=BB3_1033 Depth=2
	v_mov_b32_e32 v16, 0
	v_mov_b32_e32 v17, 0
.LBB3_1087:                             ;   in Loop: Header=BB3_1033 Depth=2
	s_cbranch_execnz .LBB3_1089
.LBB3_1088:                             ;   in Loop: Header=BB3_1033 Depth=2
	global_load_dwordx2 v[16:17], v54, s[20:21]
.LBB3_1089:                             ;   in Loop: Header=BB3_1033 Depth=2
	v_readfirstlane_b32 s4, v47
	v_mov_b32_e32 v22, 0
	v_mov_b32_e32 v23, 0
	v_cmp_eq_u32_e64 s[4:5], s4, v47
	s_and_saveexec_b64 s[20:21], s[4:5]
	s_cbranch_execz .LBB3_1095
; %bb.1090:                             ;   in Loop: Header=BB3_1033 Depth=2
	global_load_dwordx2 v[20:21], v54, s[12:13] offset:24 glc
	s_waitcnt vmcnt(0)
	buffer_wbinvl1_vol
	global_load_dwordx2 v[18:19], v54, s[12:13] offset:40
	global_load_dwordx2 v[22:23], v54, s[12:13]
	s_waitcnt vmcnt(1)
	v_and_b32_e32 v18, v18, v20
	v_and_b32_e32 v19, v19, v21
	v_mul_lo_u32 v19, v19, 24
	v_mul_hi_u32 v29, v18, 24
	v_mul_lo_u32 v18, v18, 24
	v_add_u32_e32 v19, v29, v19
	s_waitcnt vmcnt(0)
	v_add_co_u32_e32 v18, vcc, v22, v18
	v_addc_co_u32_e32 v19, vcc, v23, v19, vcc
	global_load_dwordx2 v[18:19], v[18:19], off glc
	s_waitcnt vmcnt(0)
	global_atomic_cmpswap_x2 v[22:23], v54, v[18:21], s[12:13] offset:24 glc
	s_waitcnt vmcnt(0)
	buffer_wbinvl1_vol
	v_cmp_ne_u64_e32 vcc, v[22:23], v[20:21]
	s_and_saveexec_b64 s[22:23], vcc
	s_cbranch_execz .LBB3_1094
; %bb.1091:                             ;   in Loop: Header=BB3_1033 Depth=2
	s_mov_b64 s[24:25], 0
.LBB3_1092:                             ;   Parent Loop BB3_3 Depth=1
                                        ;     Parent Loop BB3_1033 Depth=2
                                        ; =>    This Inner Loop Header: Depth=3
	s_sleep 1
	global_load_dwordx2 v[18:19], v54, s[12:13] offset:40
	global_load_dwordx2 v[29:30], v54, s[12:13]
	v_mov_b32_e32 v20, v22
	v_mov_b32_e32 v21, v23
	s_waitcnt vmcnt(1)
	v_and_b32_e32 v18, v18, v20
	s_waitcnt vmcnt(0)
	v_mad_u64_u32 v[22:23], s[42:43], v18, 24, v[29:30]
	v_and_b32_e32 v19, v19, v21
	v_mov_b32_e32 v18, v23
	v_mad_u64_u32 v[18:19], s[42:43], v19, 24, v[18:19]
	v_mov_b32_e32 v23, v18
	global_load_dwordx2 v[18:19], v[22:23], off glc
	s_waitcnt vmcnt(0)
	global_atomic_cmpswap_x2 v[22:23], v54, v[18:21], s[12:13] offset:24 glc
	s_waitcnt vmcnt(0)
	buffer_wbinvl1_vol
	v_cmp_eq_u64_e32 vcc, v[22:23], v[20:21]
	s_or_b64 s[24:25], vcc, s[24:25]
	s_andn2_b64 exec, exec, s[24:25]
	s_cbranch_execnz .LBB3_1092
; %bb.1093:                             ;   in Loop: Header=BB3_1033 Depth=2
	s_or_b64 exec, exec, s[24:25]
.LBB3_1094:                             ;   in Loop: Header=BB3_1033 Depth=2
	s_or_b64 exec, exec, s[22:23]
.LBB3_1095:                             ;   in Loop: Header=BB3_1033 Depth=2
	s_or_b64 exec, exec, s[20:21]
	global_load_dwordx2 v[29:30], v54, s[12:13] offset:40
	global_load_dwordx4 v[18:21], v54, s[12:13]
	v_readfirstlane_b32 s21, v23
	v_readfirstlane_b32 s20, v22
	s_mov_b64 s[22:23], exec
	s_waitcnt vmcnt(1)
	v_readfirstlane_b32 s24, v29
	v_readfirstlane_b32 s25, v30
	s_and_b64 s[24:25], s[24:25], s[20:21]
	s_mul_i32 s41, s25, 24
	s_mul_hi_u32 s42, s24, 24
	s_mul_i32 s43, s24, 24
	s_add_i32 s41, s42, s41
	v_mov_b32_e32 v23, s41
	s_waitcnt vmcnt(0)
	v_add_co_u32_e32 v22, vcc, s43, v18
	v_addc_co_u32_e32 v23, vcc, v19, v23, vcc
	s_and_saveexec_b64 s[42:43], s[4:5]
	s_cbranch_execz .LBB3_1097
; %bb.1096:                             ;   in Loop: Header=BB3_1033 Depth=2
	v_mov_b32_e32 v38, s23
	v_mov_b32_e32 v37, s22
	global_store_dwordx4 v[22:23], v[37:40], off offset:8
.LBB3_1097:                             ;   in Loop: Header=BB3_1033 Depth=2
	s_or_b64 exec, exec, s[42:43]
	s_lshl_b64 s[22:23], s[24:25], 12
	v_mov_b32_e32 v29, s23
	v_add_co_u32_e32 v20, vcc, s22, v20
	v_addc_co_u32_e32 v21, vcc, v21, v29, vcc
	v_cmp_lt_u64_e64 vcc, s[16:17], 57
	s_lshl_b32 s22, s18, 2
	v_cndmask_b32_e32 v29, 0, v28, vcc
	s_add_i32 s22, s22, 28
	v_and_b32_e32 v2, 0xffffff1f, v2
	s_and_b32 s22, s22, 0x1e0
	v_or_b32_e32 v2, v2, v29
	v_or_b32_e32 v2, s22, v2
	v_readfirstlane_b32 s22, v20
	v_readfirstlane_b32 s23, v21
	s_nop 4
	global_store_dwordx4 v26, v[2:5], s[22:23]
	global_store_dwordx4 v26, v[6:9], s[22:23] offset:16
	global_store_dwordx4 v26, v[10:13], s[22:23] offset:32
	;; [unrolled: 1-line block ×3, first 2 shown]
	s_and_saveexec_b64 s[22:23], s[4:5]
	s_cbranch_execz .LBB3_1105
; %bb.1098:                             ;   in Loop: Header=BB3_1033 Depth=2
	global_load_dwordx2 v[10:11], v54, s[12:13] offset:32 glc
	global_load_dwordx2 v[2:3], v54, s[12:13] offset:40
	v_mov_b32_e32 v8, s20
	v_mov_b32_e32 v9, s21
	s_waitcnt vmcnt(0)
	v_readfirstlane_b32 s24, v2
	v_readfirstlane_b32 s25, v3
	s_and_b64 s[24:25], s[24:25], s[20:21]
	s_mul_i32 s25, s25, 24
	s_mul_hi_u32 s41, s24, 24
	s_mul_i32 s24, s24, 24
	s_add_i32 s25, s41, s25
	v_mov_b32_e32 v2, s25
	v_add_co_u32_e32 v6, vcc, s24, v18
	v_addc_co_u32_e32 v7, vcc, v19, v2, vcc
	global_store_dwordx2 v[6:7], v[10:11], off
	s_waitcnt vmcnt(0)
	global_atomic_cmpswap_x2 v[4:5], v54, v[8:11], s[12:13] offset:32 glc
	s_waitcnt vmcnt(0)
	v_cmp_ne_u64_e32 vcc, v[4:5], v[10:11]
	s_and_saveexec_b64 s[24:25], vcc
	s_cbranch_execz .LBB3_1101
; %bb.1099:                             ;   in Loop: Header=BB3_1033 Depth=2
	s_mov_b64 s[42:43], 0
.LBB3_1100:                             ;   Parent Loop BB3_3 Depth=1
                                        ;     Parent Loop BB3_1033 Depth=2
                                        ; =>    This Inner Loop Header: Depth=3
	s_sleep 1
	global_store_dwordx2 v[6:7], v[4:5], off
	v_mov_b32_e32 v2, s20
	v_mov_b32_e32 v3, s21
	s_waitcnt vmcnt(0)
	global_atomic_cmpswap_x2 v[2:3], v54, v[2:5], s[12:13] offset:32 glc
	s_waitcnt vmcnt(0)
	v_cmp_eq_u64_e32 vcc, v[2:3], v[4:5]
	v_mov_b32_e32 v5, v3
	s_or_b64 s[42:43], vcc, s[42:43]
	v_mov_b32_e32 v4, v2
	s_andn2_b64 exec, exec, s[42:43]
	s_cbranch_execnz .LBB3_1100
.LBB3_1101:                             ;   in Loop: Header=BB3_1033 Depth=2
	s_or_b64 exec, exec, s[24:25]
	global_load_dwordx2 v[2:3], v54, s[12:13] offset:16
	s_mov_b64 s[42:43], exec
	v_mbcnt_lo_u32_b32 v4, s42, 0
	v_mbcnt_hi_u32_b32 v4, s43, v4
	v_cmp_eq_u32_e32 vcc, 0, v4
	s_and_saveexec_b64 s[24:25], vcc
	s_cbranch_execz .LBB3_1103
; %bb.1102:                             ;   in Loop: Header=BB3_1033 Depth=2
	s_bcnt1_i32_b64 s41, s[42:43]
	v_mov_b32_e32 v53, s41
	s_waitcnt vmcnt(0)
	global_atomic_add_x2 v[2:3], v[53:54], off offset:8
.LBB3_1103:                             ;   in Loop: Header=BB3_1033 Depth=2
	s_or_b64 exec, exec, s[24:25]
	s_waitcnt vmcnt(0)
	global_load_dwordx2 v[4:5], v[2:3], off offset:16
	s_waitcnt vmcnt(0)
	v_cmp_eq_u64_e32 vcc, 0, v[4:5]
	s_cbranch_vccnz .LBB3_1105
; %bb.1104:                             ;   in Loop: Header=BB3_1033 Depth=2
	global_load_dword v53, v[2:3], off offset:24
	s_waitcnt vmcnt(0)
	v_readfirstlane_b32 s24, v53
	s_and_b32 m0, s24, 0xffffff
	global_store_dwordx2 v[4:5], v[53:54], off
	s_sendmsg sendmsg(MSG_INTERRUPT)
.LBB3_1105:                             ;   in Loop: Header=BB3_1033 Depth=2
	s_or_b64 exec, exec, s[22:23]
	v_add_co_u32_e32 v2, vcc, v20, v26
	v_addc_co_u32_e32 v3, vcc, 0, v21, vcc
	s_branch .LBB3_1109
.LBB3_1106:                             ;   in Loop: Header=BB3_1109 Depth=3
	s_or_b64 exec, exec, s[22:23]
	v_readfirstlane_b32 s22, v4
	s_cmp_eq_u32 s22, 0
	s_cbranch_scc1 .LBB3_1108
; %bb.1107:                             ;   in Loop: Header=BB3_1109 Depth=3
	s_sleep 1
	s_cbranch_execnz .LBB3_1109
	s_branch .LBB3_1111
.LBB3_1108:                             ;   in Loop: Header=BB3_1033 Depth=2
	s_branch .LBB3_1111
.LBB3_1109:                             ;   Parent Loop BB3_3 Depth=1
                                        ;     Parent Loop BB3_1033 Depth=2
                                        ; =>    This Inner Loop Header: Depth=3
	v_mov_b32_e32 v4, 1
	s_and_saveexec_b64 s[22:23], s[4:5]
	s_cbranch_execz .LBB3_1106
; %bb.1110:                             ;   in Loop: Header=BB3_1109 Depth=3
	global_load_dword v4, v[22:23], off offset:20 glc
	s_waitcnt vmcnt(0)
	buffer_wbinvl1_vol
	v_and_b32_e32 v4, 1, v4
	s_branch .LBB3_1106
.LBB3_1111:                             ;   in Loop: Header=BB3_1033 Depth=2
	global_load_dwordx2 v[2:3], v[2:3], off
	s_and_saveexec_b64 s[22:23], s[4:5]
	s_cbranch_execz .LBB3_1032
; %bb.1112:                             ;   in Loop: Header=BB3_1033 Depth=2
	global_load_dwordx2 v[4:5], v54, s[12:13] offset:40
	global_load_dwordx2 v[12:13], v54, s[12:13] offset:24 glc
	global_load_dwordx2 v[6:7], v54, s[12:13]
	s_waitcnt vmcnt(2)
	v_readfirstlane_b32 s24, v4
	v_readfirstlane_b32 s25, v5
	s_add_u32 s41, s24, 1
	s_addc_u32 s42, s25, 0
	s_add_u32 s4, s41, s20
	s_addc_u32 s5, s42, s21
	s_cmp_eq_u64 s[4:5], 0
	s_cselect_b32 s5, s42, s5
	s_cselect_b32 s4, s41, s4
	s_and_b64 s[20:21], s[4:5], s[24:25]
	s_mul_i32 s21, s21, 24
	s_mul_hi_u32 s24, s20, 24
	s_mul_i32 s20, s20, 24
	s_add_i32 s21, s24, s21
	v_mov_b32_e32 v4, s21
	s_waitcnt vmcnt(0)
	v_add_co_u32_e32 v8, vcc, s20, v6
	v_addc_co_u32_e32 v9, vcc, v7, v4, vcc
	v_mov_b32_e32 v10, s4
	global_store_dwordx2 v[8:9], v[12:13], off
	v_mov_b32_e32 v11, s5
	s_waitcnt vmcnt(0)
	global_atomic_cmpswap_x2 v[6:7], v54, v[10:13], s[12:13] offset:24 glc
	s_waitcnt vmcnt(0)
	v_cmp_ne_u64_e32 vcc, v[6:7], v[12:13]
	s_and_b64 exec, exec, vcc
	s_cbranch_execz .LBB3_1032
; %bb.1113:                             ;   in Loop: Header=BB3_1033 Depth=2
	s_mov_b64 s[20:21], 0
.LBB3_1114:                             ;   Parent Loop BB3_3 Depth=1
                                        ;     Parent Loop BB3_1033 Depth=2
                                        ; =>    This Inner Loop Header: Depth=3
	s_sleep 1
	global_store_dwordx2 v[8:9], v[6:7], off
	v_mov_b32_e32 v4, s4
	v_mov_b32_e32 v5, s5
	s_waitcnt vmcnt(0)
	global_atomic_cmpswap_x2 v[4:5], v54, v[4:7], s[12:13] offset:24 glc
	s_waitcnt vmcnt(0)
	v_cmp_eq_u64_e32 vcc, v[4:5], v[6:7]
	v_mov_b32_e32 v7, v5
	s_or_b64 s[20:21], vcc, s[20:21]
	v_mov_b32_e32 v6, v4
	s_andn2_b64 exec, exec, s[20:21]
	s_cbranch_execnz .LBB3_1114
	s_branch .LBB3_1032
.LBB3_1115:                             ;   in Loop: Header=BB3_3 Depth=1
	s_branch .LBB3_1145
.LBB3_1116:                             ;   in Loop: Header=BB3_3 Depth=1
	s_branch .LBB3_1252
.LBB3_1117:                             ;   in Loop: Header=BB3_3 Depth=1
                                        ; implicit-def: $vgpr2_vgpr3
	s_cbranch_execz .LBB3_1145
; %bb.1118:                             ;   in Loop: Header=BB3_3 Depth=1
	v_readfirstlane_b32 s4, v47
	s_waitcnt vmcnt(0)
	v_mov_b32_e32 v2, 0
	v_mov_b32_e32 v3, 0
	v_cmp_eq_u32_e64 s[4:5], s4, v47
	s_and_saveexec_b64 s[14:15], s[4:5]
	s_cbranch_execz .LBB3_1124
; %bb.1119:                             ;   in Loop: Header=BB3_3 Depth=1
	global_load_dwordx2 v[4:5], v54, s[12:13] offset:24 glc
	s_waitcnt vmcnt(0)
	buffer_wbinvl1_vol
	global_load_dwordx2 v[2:3], v54, s[12:13] offset:40
	global_load_dwordx2 v[6:7], v54, s[12:13]
	s_waitcnt vmcnt(1)
	v_and_b32_e32 v2, v2, v4
	v_and_b32_e32 v3, v3, v5
	v_mul_lo_u32 v3, v3, 24
	v_mul_hi_u32 v8, v2, 24
	v_mul_lo_u32 v2, v2, 24
	v_add_u32_e32 v3, v8, v3
	s_waitcnt vmcnt(0)
	v_add_co_u32_e32 v2, vcc, v6, v2
	v_addc_co_u32_e32 v3, vcc, v7, v3, vcc
	global_load_dwordx2 v[2:3], v[2:3], off glc
	s_waitcnt vmcnt(0)
	global_atomic_cmpswap_x2 v[2:3], v54, v[2:5], s[12:13] offset:24 glc
	s_waitcnt vmcnt(0)
	buffer_wbinvl1_vol
	v_cmp_ne_u64_e32 vcc, v[2:3], v[4:5]
	s_and_saveexec_b64 s[16:17], vcc
	s_cbranch_execz .LBB3_1123
; %bb.1120:                             ;   in Loop: Header=BB3_3 Depth=1
	s_mov_b64 s[18:19], 0
.LBB3_1121:                             ;   Parent Loop BB3_3 Depth=1
                                        ; =>  This Inner Loop Header: Depth=2
	s_sleep 1
	global_load_dwordx2 v[6:7], v54, s[12:13] offset:40
	global_load_dwordx2 v[8:9], v54, s[12:13]
	v_mov_b32_e32 v5, v3
	v_mov_b32_e32 v4, v2
	s_waitcnt vmcnt(1)
	v_and_b32_e32 v2, v6, v4
	s_waitcnt vmcnt(0)
	v_mad_u64_u32 v[2:3], s[20:21], v2, 24, v[8:9]
	v_and_b32_e32 v6, v7, v5
	v_mad_u64_u32 v[6:7], s[20:21], v6, 24, v[3:4]
	v_mov_b32_e32 v3, v6
	global_load_dwordx2 v[2:3], v[2:3], off glc
	s_waitcnt vmcnt(0)
	global_atomic_cmpswap_x2 v[2:3], v54, v[2:5], s[12:13] offset:24 glc
	s_waitcnt vmcnt(0)
	buffer_wbinvl1_vol
	v_cmp_eq_u64_e32 vcc, v[2:3], v[4:5]
	s_or_b64 s[18:19], vcc, s[18:19]
	s_andn2_b64 exec, exec, s[18:19]
	s_cbranch_execnz .LBB3_1121
; %bb.1122:                             ;   in Loop: Header=BB3_3 Depth=1
	s_or_b64 exec, exec, s[18:19]
.LBB3_1123:                             ;   in Loop: Header=BB3_3 Depth=1
	s_or_b64 exec, exec, s[16:17]
.LBB3_1124:                             ;   in Loop: Header=BB3_3 Depth=1
	s_or_b64 exec, exec, s[14:15]
	global_load_dwordx2 v[8:9], v54, s[12:13] offset:40
	global_load_dwordx4 v[4:7], v54, s[12:13]
	v_readfirstlane_b32 s15, v3
	v_readfirstlane_b32 s14, v2
	s_mov_b64 s[16:17], exec
	s_waitcnt vmcnt(1)
	v_readfirstlane_b32 s18, v8
	v_readfirstlane_b32 s19, v9
	s_and_b64 s[18:19], s[18:19], s[14:15]
	s_mul_i32 s20, s19, 24
	s_mul_hi_u32 s21, s18, 24
	s_mul_i32 s22, s18, 24
	s_add_i32 s20, s21, s20
	v_mov_b32_e32 v2, s20
	s_waitcnt vmcnt(0)
	v_add_co_u32_e32 v8, vcc, s22, v4
	v_addc_co_u32_e32 v9, vcc, v5, v2, vcc
	s_and_saveexec_b64 s[20:21], s[4:5]
	s_cbranch_execz .LBB3_1126
; %bb.1125:                             ;   in Loop: Header=BB3_3 Depth=1
	v_mov_b32_e32 v38, s17
	v_mov_b32_e32 v37, s16
	global_store_dwordx4 v[8:9], v[37:40], off offset:8
.LBB3_1126:                             ;   in Loop: Header=BB3_3 Depth=1
	s_or_b64 exec, exec, s[20:21]
	s_lshl_b64 s[16:17], s[18:19], 12
	v_mov_b32_e32 v2, s17
	v_add_co_u32_e32 v6, vcc, s16, v6
	v_addc_co_u32_e32 v7, vcc, v7, v2, vcc
	v_and_or_b32 v0, v0, s48, 32
	v_mov_b32_e32 v2, v54
	v_mov_b32_e32 v3, v54
	v_readfirstlane_b32 s16, v6
	v_readfirstlane_b32 s17, v7
	s_mov_b32 s41, s40
	s_mov_b32 s42, s40
	;; [unrolled: 1-line block ×3, first 2 shown]
	s_nop 1
	global_store_dwordx4 v26, v[0:3], s[16:17]
	s_nop 0
	v_mov_b32_e32 v0, s40
	v_mov_b32_e32 v1, s41
	;; [unrolled: 1-line block ×4, first 2 shown]
	global_store_dwordx4 v26, v[0:3], s[16:17] offset:16
	global_store_dwordx4 v26, v[0:3], s[16:17] offset:32
	;; [unrolled: 1-line block ×3, first 2 shown]
	s_and_saveexec_b64 s[16:17], s[4:5]
	s_cbranch_execz .LBB3_1134
; %bb.1127:                             ;   in Loop: Header=BB3_3 Depth=1
	global_load_dwordx2 v[12:13], v54, s[12:13] offset:32 glc
	global_load_dwordx2 v[0:1], v54, s[12:13] offset:40
	v_mov_b32_e32 v10, s14
	v_mov_b32_e32 v11, s15
	s_waitcnt vmcnt(0)
	v_readfirstlane_b32 s18, v0
	v_readfirstlane_b32 s19, v1
	s_and_b64 s[18:19], s[18:19], s[14:15]
	s_mul_i32 s19, s19, 24
	s_mul_hi_u32 s20, s18, 24
	s_mul_i32 s18, s18, 24
	s_add_i32 s19, s20, s19
	v_mov_b32_e32 v0, s19
	v_add_co_u32_e32 v4, vcc, s18, v4
	v_addc_co_u32_e32 v5, vcc, v5, v0, vcc
	global_store_dwordx2 v[4:5], v[12:13], off
	s_waitcnt vmcnt(0)
	global_atomic_cmpswap_x2 v[2:3], v54, v[10:13], s[12:13] offset:32 glc
	s_waitcnt vmcnt(0)
	v_cmp_ne_u64_e32 vcc, v[2:3], v[12:13]
	s_and_saveexec_b64 s[18:19], vcc
	s_cbranch_execz .LBB3_1130
; %bb.1128:                             ;   in Loop: Header=BB3_3 Depth=1
	s_mov_b64 s[20:21], 0
.LBB3_1129:                             ;   Parent Loop BB3_3 Depth=1
                                        ; =>  This Inner Loop Header: Depth=2
	s_sleep 1
	global_store_dwordx2 v[4:5], v[2:3], off
	v_mov_b32_e32 v0, s14
	v_mov_b32_e32 v1, s15
	s_waitcnt vmcnt(0)
	global_atomic_cmpswap_x2 v[0:1], v54, v[0:3], s[12:13] offset:32 glc
	s_waitcnt vmcnt(0)
	v_cmp_eq_u64_e32 vcc, v[0:1], v[2:3]
	v_mov_b32_e32 v3, v1
	s_or_b64 s[20:21], vcc, s[20:21]
	v_mov_b32_e32 v2, v0
	s_andn2_b64 exec, exec, s[20:21]
	s_cbranch_execnz .LBB3_1129
.LBB3_1130:                             ;   in Loop: Header=BB3_3 Depth=1
	s_or_b64 exec, exec, s[18:19]
	global_load_dwordx2 v[0:1], v54, s[12:13] offset:16
	s_mov_b64 s[20:21], exec
	v_mbcnt_lo_u32_b32 v2, s20, 0
	v_mbcnt_hi_u32_b32 v2, s21, v2
	v_cmp_eq_u32_e32 vcc, 0, v2
	s_and_saveexec_b64 s[18:19], vcc
	s_cbranch_execz .LBB3_1132
; %bb.1131:                             ;   in Loop: Header=BB3_3 Depth=1
	s_bcnt1_i32_b64 s20, s[20:21]
	v_mov_b32_e32 v53, s20
	s_waitcnt vmcnt(0)
	global_atomic_add_x2 v[0:1], v[53:54], off offset:8
.LBB3_1132:                             ;   in Loop: Header=BB3_3 Depth=1
	s_or_b64 exec, exec, s[18:19]
	s_waitcnt vmcnt(0)
	global_load_dwordx2 v[2:3], v[0:1], off offset:16
	s_waitcnt vmcnt(0)
	v_cmp_eq_u64_e32 vcc, 0, v[2:3]
	s_cbranch_vccnz .LBB3_1134
; %bb.1133:                             ;   in Loop: Header=BB3_3 Depth=1
	global_load_dword v53, v[0:1], off offset:24
	s_waitcnt vmcnt(0)
	v_readfirstlane_b32 s18, v53
	s_and_b32 m0, s18, 0xffffff
	global_store_dwordx2 v[2:3], v[53:54], off
	s_sendmsg sendmsg(MSG_INTERRUPT)
.LBB3_1134:                             ;   in Loop: Header=BB3_3 Depth=1
	s_or_b64 exec, exec, s[16:17]
	v_add_co_u32_e32 v0, vcc, v6, v26
	v_addc_co_u32_e32 v1, vcc, 0, v7, vcc
	s_branch .LBB3_1138
.LBB3_1135:                             ;   in Loop: Header=BB3_1138 Depth=2
	s_or_b64 exec, exec, s[16:17]
	v_readfirstlane_b32 s16, v2
	s_cmp_eq_u32 s16, 0
	s_cbranch_scc1 .LBB3_1137
; %bb.1136:                             ;   in Loop: Header=BB3_1138 Depth=2
	s_sleep 1
	s_cbranch_execnz .LBB3_1138
	s_branch .LBB3_1140
.LBB3_1137:                             ;   in Loop: Header=BB3_3 Depth=1
	s_branch .LBB3_1140
.LBB3_1138:                             ;   Parent Loop BB3_3 Depth=1
                                        ; =>  This Inner Loop Header: Depth=2
	v_mov_b32_e32 v2, 1
	s_and_saveexec_b64 s[16:17], s[4:5]
	s_cbranch_execz .LBB3_1135
; %bb.1139:                             ;   in Loop: Header=BB3_1138 Depth=2
	global_load_dword v2, v[8:9], off offset:20 glc
	s_waitcnt vmcnt(0)
	buffer_wbinvl1_vol
	v_and_b32_e32 v2, 1, v2
	s_branch .LBB3_1135
.LBB3_1140:                             ;   in Loop: Header=BB3_3 Depth=1
	global_load_dwordx2 v[2:3], v[0:1], off
	s_and_saveexec_b64 s[16:17], s[4:5]
	s_cbranch_execz .LBB3_1144
; %bb.1141:                             ;   in Loop: Header=BB3_3 Depth=1
	global_load_dwordx2 v[0:1], v54, s[12:13] offset:40
	global_load_dwordx2 v[8:9], v54, s[12:13] offset:24 glc
	global_load_dwordx2 v[4:5], v54, s[12:13]
	s_waitcnt vmcnt(2)
	v_readfirstlane_b32 s18, v0
	v_readfirstlane_b32 s19, v1
	s_add_u32 s20, s18, 1
	s_addc_u32 s21, s19, 0
	s_add_u32 s4, s20, s14
	s_addc_u32 s5, s21, s15
	s_cmp_eq_u64 s[4:5], 0
	s_cselect_b32 s5, s21, s5
	s_cselect_b32 s4, s20, s4
	s_and_b64 s[14:15], s[4:5], s[18:19]
	s_mul_i32 s15, s15, 24
	s_mul_hi_u32 s18, s14, 24
	s_mul_i32 s14, s14, 24
	s_add_i32 s15, s18, s15
	v_mov_b32_e32 v1, s15
	s_waitcnt vmcnt(0)
	v_add_co_u32_e32 v0, vcc, s14, v4
	v_addc_co_u32_e32 v1, vcc, v5, v1, vcc
	v_mov_b32_e32 v6, s4
	global_store_dwordx2 v[0:1], v[8:9], off
	v_mov_b32_e32 v7, s5
	s_waitcnt vmcnt(0)
	global_atomic_cmpswap_x2 v[6:7], v54, v[6:9], s[12:13] offset:24 glc
	s_waitcnt vmcnt(0)
	v_cmp_ne_u64_e32 vcc, v[6:7], v[8:9]
	s_and_b64 exec, exec, vcc
	s_cbranch_execz .LBB3_1144
; %bb.1142:                             ;   in Loop: Header=BB3_3 Depth=1
	s_mov_b64 s[14:15], 0
.LBB3_1143:                             ;   Parent Loop BB3_3 Depth=1
                                        ; =>  This Inner Loop Header: Depth=2
	s_sleep 1
	global_store_dwordx2 v[0:1], v[6:7], off
	v_mov_b32_e32 v4, s4
	v_mov_b32_e32 v5, s5
	s_waitcnt vmcnt(0)
	global_atomic_cmpswap_x2 v[4:5], v54, v[4:7], s[12:13] offset:24 glc
	s_waitcnt vmcnt(0)
	v_cmp_eq_u64_e32 vcc, v[4:5], v[6:7]
	v_mov_b32_e32 v7, v5
	s_or_b64 s[14:15], vcc, s[14:15]
	v_mov_b32_e32 v6, v4
	s_andn2_b64 exec, exec, s[14:15]
	s_cbranch_execnz .LBB3_1143
.LBB3_1144:                             ;   in Loop: Header=BB3_3 Depth=1
	s_or_b64 exec, exec, s[16:17]
.LBB3_1145:                             ;   in Loop: Header=BB3_3 Depth=1
	v_readfirstlane_b32 s4, v47
	s_waitcnt vmcnt(0)
	v_mov_b32_e32 v0, 0
	v_mov_b32_e32 v1, 0
	v_cmp_eq_u32_e64 s[4:5], s4, v47
	s_and_saveexec_b64 s[14:15], s[4:5]
	s_cbranch_execz .LBB3_1151
; %bb.1146:                             ;   in Loop: Header=BB3_3 Depth=1
	global_load_dwordx2 v[6:7], v54, s[12:13] offset:24 glc
	s_waitcnt vmcnt(0)
	buffer_wbinvl1_vol
	global_load_dwordx2 v[0:1], v54, s[12:13] offset:40
	global_load_dwordx2 v[4:5], v54, s[12:13]
	s_waitcnt vmcnt(1)
	v_and_b32_e32 v0, v0, v6
	v_and_b32_e32 v1, v1, v7
	v_mul_lo_u32 v1, v1, 24
	v_mul_hi_u32 v8, v0, 24
	v_mul_lo_u32 v0, v0, 24
	v_add_u32_e32 v1, v8, v1
	s_waitcnt vmcnt(0)
	v_add_co_u32_e32 v0, vcc, v4, v0
	v_addc_co_u32_e32 v1, vcc, v5, v1, vcc
	global_load_dwordx2 v[4:5], v[0:1], off glc
	s_waitcnt vmcnt(0)
	global_atomic_cmpswap_x2 v[0:1], v54, v[4:7], s[12:13] offset:24 glc
	s_waitcnt vmcnt(0)
	buffer_wbinvl1_vol
	v_cmp_ne_u64_e32 vcc, v[0:1], v[6:7]
	s_and_saveexec_b64 s[16:17], vcc
	s_cbranch_execz .LBB3_1150
; %bb.1147:                             ;   in Loop: Header=BB3_3 Depth=1
	s_mov_b64 s[18:19], 0
.LBB3_1148:                             ;   Parent Loop BB3_3 Depth=1
                                        ; =>  This Inner Loop Header: Depth=2
	s_sleep 1
	global_load_dwordx2 v[4:5], v54, s[12:13] offset:40
	global_load_dwordx2 v[8:9], v54, s[12:13]
	v_mov_b32_e32 v7, v1
	v_mov_b32_e32 v6, v0
	s_waitcnt vmcnt(1)
	v_and_b32_e32 v0, v4, v6
	s_waitcnt vmcnt(0)
	v_mad_u64_u32 v[0:1], s[20:21], v0, 24, v[8:9]
	v_and_b32_e32 v4, v5, v7
	v_mad_u64_u32 v[4:5], s[20:21], v4, 24, v[1:2]
	v_mov_b32_e32 v1, v4
	global_load_dwordx2 v[4:5], v[0:1], off glc
	s_waitcnt vmcnt(0)
	global_atomic_cmpswap_x2 v[0:1], v54, v[4:7], s[12:13] offset:24 glc
	s_waitcnt vmcnt(0)
	buffer_wbinvl1_vol
	v_cmp_eq_u64_e32 vcc, v[0:1], v[6:7]
	s_or_b64 s[18:19], vcc, s[18:19]
	s_andn2_b64 exec, exec, s[18:19]
	s_cbranch_execnz .LBB3_1148
; %bb.1149:                             ;   in Loop: Header=BB3_3 Depth=1
	s_or_b64 exec, exec, s[18:19]
.LBB3_1150:                             ;   in Loop: Header=BB3_3 Depth=1
	s_or_b64 exec, exec, s[16:17]
.LBB3_1151:                             ;   in Loop: Header=BB3_3 Depth=1
	s_or_b64 exec, exec, s[14:15]
	global_load_dwordx2 v[4:5], v54, s[12:13] offset:40
	global_load_dwordx4 v[6:9], v54, s[12:13]
	v_readfirstlane_b32 s15, v1
	v_readfirstlane_b32 s14, v0
	s_mov_b64 s[16:17], exec
	s_waitcnt vmcnt(1)
	v_readfirstlane_b32 s18, v4
	v_readfirstlane_b32 s19, v5
	s_and_b64 s[18:19], s[18:19], s[14:15]
	s_mul_i32 s20, s19, 24
	s_mul_hi_u32 s21, s18, 24
	s_mul_i32 s22, s18, 24
	s_add_i32 s20, s21, s20
	v_mov_b32_e32 v0, s20
	s_waitcnt vmcnt(0)
	v_add_co_u32_e32 v10, vcc, s22, v6
	v_addc_co_u32_e32 v11, vcc, v7, v0, vcc
	s_and_saveexec_b64 s[20:21], s[4:5]
	s_cbranch_execz .LBB3_1153
; %bb.1152:                             ;   in Loop: Header=BB3_3 Depth=1
	v_mov_b32_e32 v38, s17
	v_mov_b32_e32 v37, s16
	global_store_dwordx4 v[10:11], v[37:40], off offset:8
.LBB3_1153:                             ;   in Loop: Header=BB3_3 Depth=1
	s_or_b64 exec, exec, s[20:21]
	s_lshl_b64 s[16:17], s[18:19], 12
	v_mov_b32_e32 v0, s17
	v_add_co_u32_e32 v8, vcc, s16, v8
	v_addc_co_u32_e32 v9, vcc, v9, v0, vcc
	v_and_or_b32 v2, v2, s48, 32
	v_mov_b32_e32 v4, v50
	v_mov_b32_e32 v5, v51
	v_readfirstlane_b32 s16, v8
	v_readfirstlane_b32 s17, v9
	s_mov_b32 s41, s40
	s_mov_b32 s42, s40
	;; [unrolled: 1-line block ×3, first 2 shown]
	s_nop 1
	global_store_dwordx4 v26, v[2:5], s[16:17]
	v_mov_b32_e32 v0, s40
	v_mov_b32_e32 v1, s41
	;; [unrolled: 1-line block ×4, first 2 shown]
	global_store_dwordx4 v26, v[0:3], s[16:17] offset:16
	global_store_dwordx4 v26, v[0:3], s[16:17] offset:32
	;; [unrolled: 1-line block ×3, first 2 shown]
	s_and_saveexec_b64 s[16:17], s[4:5]
	s_cbranch_execz .LBB3_1161
; %bb.1154:                             ;   in Loop: Header=BB3_3 Depth=1
	global_load_dwordx2 v[14:15], v54, s[12:13] offset:32 glc
	global_load_dwordx2 v[0:1], v54, s[12:13] offset:40
	v_mov_b32_e32 v12, s14
	v_mov_b32_e32 v13, s15
	s_waitcnt vmcnt(0)
	v_readfirstlane_b32 s18, v0
	v_readfirstlane_b32 s19, v1
	s_and_b64 s[18:19], s[18:19], s[14:15]
	s_mul_i32 s19, s19, 24
	s_mul_hi_u32 s20, s18, 24
	s_mul_i32 s18, s18, 24
	s_add_i32 s19, s20, s19
	v_mov_b32_e32 v0, s19
	v_add_co_u32_e32 v4, vcc, s18, v6
	v_addc_co_u32_e32 v5, vcc, v7, v0, vcc
	global_store_dwordx2 v[4:5], v[14:15], off
	s_waitcnt vmcnt(0)
	global_atomic_cmpswap_x2 v[2:3], v54, v[12:15], s[12:13] offset:32 glc
	s_waitcnt vmcnt(0)
	v_cmp_ne_u64_e32 vcc, v[2:3], v[14:15]
	s_and_saveexec_b64 s[18:19], vcc
	s_cbranch_execz .LBB3_1157
; %bb.1155:                             ;   in Loop: Header=BB3_3 Depth=1
	s_mov_b64 s[20:21], 0
.LBB3_1156:                             ;   Parent Loop BB3_3 Depth=1
                                        ; =>  This Inner Loop Header: Depth=2
	s_sleep 1
	global_store_dwordx2 v[4:5], v[2:3], off
	v_mov_b32_e32 v0, s14
	v_mov_b32_e32 v1, s15
	s_waitcnt vmcnt(0)
	global_atomic_cmpswap_x2 v[0:1], v54, v[0:3], s[12:13] offset:32 glc
	s_waitcnt vmcnt(0)
	v_cmp_eq_u64_e32 vcc, v[0:1], v[2:3]
	v_mov_b32_e32 v3, v1
	s_or_b64 s[20:21], vcc, s[20:21]
	v_mov_b32_e32 v2, v0
	s_andn2_b64 exec, exec, s[20:21]
	s_cbranch_execnz .LBB3_1156
.LBB3_1157:                             ;   in Loop: Header=BB3_3 Depth=1
	s_or_b64 exec, exec, s[18:19]
	global_load_dwordx2 v[0:1], v54, s[12:13] offset:16
	s_mov_b64 s[20:21], exec
	v_mbcnt_lo_u32_b32 v2, s20, 0
	v_mbcnt_hi_u32_b32 v2, s21, v2
	v_cmp_eq_u32_e32 vcc, 0, v2
	s_and_saveexec_b64 s[18:19], vcc
	s_cbranch_execz .LBB3_1159
; %bb.1158:                             ;   in Loop: Header=BB3_3 Depth=1
	s_bcnt1_i32_b64 s20, s[20:21]
	v_mov_b32_e32 v53, s20
	s_waitcnt vmcnt(0)
	global_atomic_add_x2 v[0:1], v[53:54], off offset:8
.LBB3_1159:                             ;   in Loop: Header=BB3_3 Depth=1
	s_or_b64 exec, exec, s[18:19]
	s_waitcnt vmcnt(0)
	global_load_dwordx2 v[2:3], v[0:1], off offset:16
	s_waitcnt vmcnt(0)
	v_cmp_eq_u64_e32 vcc, 0, v[2:3]
	s_cbranch_vccnz .LBB3_1161
; %bb.1160:                             ;   in Loop: Header=BB3_3 Depth=1
	global_load_dword v53, v[0:1], off offset:24
	s_waitcnt vmcnt(0)
	v_readfirstlane_b32 s18, v53
	s_and_b32 m0, s18, 0xffffff
	global_store_dwordx2 v[2:3], v[53:54], off
	s_sendmsg sendmsg(MSG_INTERRUPT)
.LBB3_1161:                             ;   in Loop: Header=BB3_3 Depth=1
	s_or_b64 exec, exec, s[16:17]
	v_add_co_u32_e32 v0, vcc, v8, v26
	v_addc_co_u32_e32 v1, vcc, 0, v9, vcc
	s_branch .LBB3_1165
.LBB3_1162:                             ;   in Loop: Header=BB3_1165 Depth=2
	s_or_b64 exec, exec, s[16:17]
	v_readfirstlane_b32 s16, v2
	s_cmp_eq_u32 s16, 0
	s_cbranch_scc1 .LBB3_1164
; %bb.1163:                             ;   in Loop: Header=BB3_1165 Depth=2
	s_sleep 1
	s_cbranch_execnz .LBB3_1165
	s_branch .LBB3_1167
.LBB3_1164:                             ;   in Loop: Header=BB3_3 Depth=1
	s_branch .LBB3_1167
.LBB3_1165:                             ;   Parent Loop BB3_3 Depth=1
                                        ; =>  This Inner Loop Header: Depth=2
	v_mov_b32_e32 v2, 1
	s_and_saveexec_b64 s[16:17], s[4:5]
	s_cbranch_execz .LBB3_1162
; %bb.1166:                             ;   in Loop: Header=BB3_1165 Depth=2
	global_load_dword v2, v[10:11], off offset:20 glc
	s_waitcnt vmcnt(0)
	buffer_wbinvl1_vol
	v_and_b32_e32 v2, 1, v2
	s_branch .LBB3_1162
.LBB3_1167:                             ;   in Loop: Header=BB3_3 Depth=1
	global_load_dwordx2 v[0:1], v[0:1], off
	s_and_saveexec_b64 s[16:17], s[4:5]
	s_cbranch_execz .LBB3_1171
; %bb.1168:                             ;   in Loop: Header=BB3_3 Depth=1
	global_load_dwordx2 v[2:3], v54, s[12:13] offset:40
	global_load_dwordx2 v[10:11], v54, s[12:13] offset:24 glc
	global_load_dwordx2 v[4:5], v54, s[12:13]
	s_waitcnt vmcnt(2)
	v_readfirstlane_b32 s18, v2
	v_readfirstlane_b32 s19, v3
	s_add_u32 s20, s18, 1
	s_addc_u32 s21, s19, 0
	s_add_u32 s4, s20, s14
	s_addc_u32 s5, s21, s15
	s_cmp_eq_u64 s[4:5], 0
	s_cselect_b32 s5, s21, s5
	s_cselect_b32 s4, s20, s4
	s_and_b64 s[14:15], s[4:5], s[18:19]
	s_mul_i32 s15, s15, 24
	s_mul_hi_u32 s18, s14, 24
	s_mul_i32 s14, s14, 24
	s_add_i32 s15, s18, s15
	v_mov_b32_e32 v2, s15
	s_waitcnt vmcnt(0)
	v_add_co_u32_e32 v6, vcc, s14, v4
	v_addc_co_u32_e32 v7, vcc, v5, v2, vcc
	v_mov_b32_e32 v8, s4
	global_store_dwordx2 v[6:7], v[10:11], off
	v_mov_b32_e32 v9, s5
	s_waitcnt vmcnt(0)
	global_atomic_cmpswap_x2 v[4:5], v54, v[8:11], s[12:13] offset:24 glc
	s_waitcnt vmcnt(0)
	v_cmp_ne_u64_e32 vcc, v[4:5], v[10:11]
	s_and_b64 exec, exec, vcc
	s_cbranch_execz .LBB3_1171
; %bb.1169:                             ;   in Loop: Header=BB3_3 Depth=1
	s_mov_b64 s[14:15], 0
.LBB3_1170:                             ;   Parent Loop BB3_3 Depth=1
                                        ; =>  This Inner Loop Header: Depth=2
	s_sleep 1
	global_store_dwordx2 v[6:7], v[4:5], off
	v_mov_b32_e32 v2, s4
	v_mov_b32_e32 v3, s5
	s_waitcnt vmcnt(0)
	global_atomic_cmpswap_x2 v[2:3], v54, v[2:5], s[12:13] offset:24 glc
	s_waitcnt vmcnt(0)
	v_cmp_eq_u64_e32 vcc, v[2:3], v[4:5]
	v_mov_b32_e32 v5, v3
	s_or_b64 s[14:15], vcc, s[14:15]
	v_mov_b32_e32 v4, v2
	s_andn2_b64 exec, exec, s[14:15]
	s_cbranch_execnz .LBB3_1170
.LBB3_1171:                             ;   in Loop: Header=BB3_3 Depth=1
	s_or_b64 exec, exec, s[16:17]
	v_readfirstlane_b32 s4, v47
	v_mov_b32_e32 v2, 0
	v_mov_b32_e32 v3, 0
	v_cmp_eq_u32_e64 s[4:5], s4, v47
	s_and_saveexec_b64 s[14:15], s[4:5]
	s_cbranch_execz .LBB3_1177
; %bb.1172:                             ;   in Loop: Header=BB3_3 Depth=1
	global_load_dwordx2 v[4:5], v54, s[12:13] offset:24 glc
	s_waitcnt vmcnt(0)
	buffer_wbinvl1_vol
	global_load_dwordx2 v[2:3], v54, s[12:13] offset:40
	global_load_dwordx2 v[6:7], v54, s[12:13]
	s_waitcnt vmcnt(1)
	v_and_b32_e32 v2, v2, v4
	v_and_b32_e32 v3, v3, v5
	v_mul_lo_u32 v3, v3, 24
	v_mul_hi_u32 v8, v2, 24
	v_mul_lo_u32 v2, v2, 24
	v_add_u32_e32 v3, v8, v3
	s_waitcnt vmcnt(0)
	v_add_co_u32_e32 v2, vcc, v6, v2
	v_addc_co_u32_e32 v3, vcc, v7, v3, vcc
	global_load_dwordx2 v[2:3], v[2:3], off glc
	s_waitcnt vmcnt(0)
	global_atomic_cmpswap_x2 v[2:3], v54, v[2:5], s[12:13] offset:24 glc
	s_waitcnt vmcnt(0)
	buffer_wbinvl1_vol
	v_cmp_ne_u64_e32 vcc, v[2:3], v[4:5]
	s_and_saveexec_b64 s[16:17], vcc
	s_cbranch_execz .LBB3_1176
; %bb.1173:                             ;   in Loop: Header=BB3_3 Depth=1
	s_mov_b64 s[18:19], 0
.LBB3_1174:                             ;   Parent Loop BB3_3 Depth=1
                                        ; =>  This Inner Loop Header: Depth=2
	s_sleep 1
	global_load_dwordx2 v[6:7], v54, s[12:13] offset:40
	global_load_dwordx2 v[8:9], v54, s[12:13]
	v_mov_b32_e32 v5, v3
	v_mov_b32_e32 v4, v2
	s_waitcnt vmcnt(1)
	v_and_b32_e32 v2, v6, v4
	s_waitcnt vmcnt(0)
	v_mad_u64_u32 v[2:3], s[20:21], v2, 24, v[8:9]
	v_and_b32_e32 v6, v7, v5
	v_mad_u64_u32 v[6:7], s[20:21], v6, 24, v[3:4]
	v_mov_b32_e32 v3, v6
	global_load_dwordx2 v[2:3], v[2:3], off glc
	s_waitcnt vmcnt(0)
	global_atomic_cmpswap_x2 v[2:3], v54, v[2:5], s[12:13] offset:24 glc
	s_waitcnt vmcnt(0)
	buffer_wbinvl1_vol
	v_cmp_eq_u64_e32 vcc, v[2:3], v[4:5]
	s_or_b64 s[18:19], vcc, s[18:19]
	s_andn2_b64 exec, exec, s[18:19]
	s_cbranch_execnz .LBB3_1174
; %bb.1175:                             ;   in Loop: Header=BB3_3 Depth=1
	s_or_b64 exec, exec, s[18:19]
.LBB3_1176:                             ;   in Loop: Header=BB3_3 Depth=1
	s_or_b64 exec, exec, s[16:17]
.LBB3_1177:                             ;   in Loop: Header=BB3_3 Depth=1
	s_or_b64 exec, exec, s[14:15]
	global_load_dwordx2 v[8:9], v54, s[12:13] offset:40
	global_load_dwordx4 v[4:7], v54, s[12:13]
	v_readfirstlane_b32 s15, v3
	v_readfirstlane_b32 s14, v2
	s_mov_b64 s[16:17], exec
	s_waitcnt vmcnt(1)
	v_readfirstlane_b32 s18, v8
	v_readfirstlane_b32 s19, v9
	s_and_b64 s[18:19], s[18:19], s[14:15]
	s_mul_i32 s20, s19, 24
	s_mul_hi_u32 s21, s18, 24
	s_mul_i32 s22, s18, 24
	s_add_i32 s20, s21, s20
	v_mov_b32_e32 v2, s20
	s_waitcnt vmcnt(0)
	v_add_co_u32_e32 v8, vcc, s22, v4
	v_addc_co_u32_e32 v9, vcc, v5, v2, vcc
	s_and_saveexec_b64 s[20:21], s[4:5]
	s_cbranch_execz .LBB3_1179
; %bb.1178:                             ;   in Loop: Header=BB3_3 Depth=1
	v_mov_b32_e32 v38, s17
	v_mov_b32_e32 v37, s16
	global_store_dwordx4 v[8:9], v[37:40], off offset:8
.LBB3_1179:                             ;   in Loop: Header=BB3_3 Depth=1
	s_or_b64 exec, exec, s[20:21]
	s_lshl_b64 s[16:17], s[18:19], 12
	v_mov_b32_e32 v2, s17
	v_add_co_u32_e32 v6, vcc, s16, v6
	v_addc_co_u32_e32 v7, vcc, v7, v2, vcc
	v_sub_u32_e32 v10, v25, v27
	v_and_or_b32 v0, v0, s48, 32
	v_mov_b32_e32 v2, v10
	v_mov_b32_e32 v3, v54
	v_readfirstlane_b32 s16, v6
	v_readfirstlane_b32 s17, v7
	s_mov_b32 s41, s40
	s_mov_b32 s42, s40
	;; [unrolled: 1-line block ×3, first 2 shown]
	s_nop 1
	global_store_dwordx4 v26, v[0:3], s[16:17]
	s_nop 0
	v_mov_b32_e32 v0, s40
	v_mov_b32_e32 v1, s41
	v_mov_b32_e32 v2, s42
	v_mov_b32_e32 v3, s43
	global_store_dwordx4 v26, v[0:3], s[16:17] offset:16
	global_store_dwordx4 v26, v[0:3], s[16:17] offset:32
	;; [unrolled: 1-line block ×3, first 2 shown]
	s_and_saveexec_b64 s[16:17], s[4:5]
	s_cbranch_execz .LBB3_1187
; %bb.1180:                             ;   in Loop: Header=BB3_3 Depth=1
	global_load_dwordx2 v[13:14], v54, s[12:13] offset:32 glc
	global_load_dwordx2 v[0:1], v54, s[12:13] offset:40
	v_mov_b32_e32 v11, s14
	v_mov_b32_e32 v12, s15
	s_waitcnt vmcnt(0)
	v_readfirstlane_b32 s18, v0
	v_readfirstlane_b32 s19, v1
	s_and_b64 s[18:19], s[18:19], s[14:15]
	s_mul_i32 s19, s19, 24
	s_mul_hi_u32 s20, s18, 24
	s_mul_i32 s18, s18, 24
	s_add_i32 s19, s20, s19
	v_mov_b32_e32 v0, s19
	v_add_co_u32_e32 v4, vcc, s18, v4
	v_addc_co_u32_e32 v5, vcc, v5, v0, vcc
	global_store_dwordx2 v[4:5], v[13:14], off
	s_waitcnt vmcnt(0)
	global_atomic_cmpswap_x2 v[2:3], v54, v[11:14], s[12:13] offset:32 glc
	s_waitcnt vmcnt(0)
	v_cmp_ne_u64_e32 vcc, v[2:3], v[13:14]
	s_and_saveexec_b64 s[18:19], vcc
	s_cbranch_execz .LBB3_1183
; %bb.1181:                             ;   in Loop: Header=BB3_3 Depth=1
	s_mov_b64 s[20:21], 0
.LBB3_1182:                             ;   Parent Loop BB3_3 Depth=1
                                        ; =>  This Inner Loop Header: Depth=2
	s_sleep 1
	global_store_dwordx2 v[4:5], v[2:3], off
	v_mov_b32_e32 v0, s14
	v_mov_b32_e32 v1, s15
	s_waitcnt vmcnt(0)
	global_atomic_cmpswap_x2 v[0:1], v54, v[0:3], s[12:13] offset:32 glc
	s_waitcnt vmcnt(0)
	v_cmp_eq_u64_e32 vcc, v[0:1], v[2:3]
	v_mov_b32_e32 v3, v1
	s_or_b64 s[20:21], vcc, s[20:21]
	v_mov_b32_e32 v2, v0
	s_andn2_b64 exec, exec, s[20:21]
	s_cbranch_execnz .LBB3_1182
.LBB3_1183:                             ;   in Loop: Header=BB3_3 Depth=1
	s_or_b64 exec, exec, s[18:19]
	global_load_dwordx2 v[0:1], v54, s[12:13] offset:16
	s_mov_b64 s[20:21], exec
	v_mbcnt_lo_u32_b32 v2, s20, 0
	v_mbcnt_hi_u32_b32 v2, s21, v2
	v_cmp_eq_u32_e32 vcc, 0, v2
	s_and_saveexec_b64 s[18:19], vcc
	s_cbranch_execz .LBB3_1185
; %bb.1184:                             ;   in Loop: Header=BB3_3 Depth=1
	s_bcnt1_i32_b64 s20, s[20:21]
	v_mov_b32_e32 v2, s20
	v_mov_b32_e32 v3, v54
	s_waitcnt vmcnt(0)
	global_atomic_add_x2 v[0:1], v[2:3], off offset:8
.LBB3_1185:                             ;   in Loop: Header=BB3_3 Depth=1
	s_or_b64 exec, exec, s[18:19]
	s_waitcnt vmcnt(0)
	global_load_dwordx2 v[2:3], v[0:1], off offset:16
	s_waitcnt vmcnt(0)
	v_cmp_eq_u64_e32 vcc, 0, v[2:3]
	s_cbranch_vccnz .LBB3_1187
; %bb.1186:                             ;   in Loop: Header=BB3_3 Depth=1
	global_load_dword v0, v[0:1], off offset:24
	v_mov_b32_e32 v1, v54
	s_waitcnt vmcnt(0)
	v_readfirstlane_b32 s18, v0
	s_and_b32 m0, s18, 0xffffff
	global_store_dwordx2 v[2:3], v[0:1], off
	s_sendmsg sendmsg(MSG_INTERRUPT)
.LBB3_1187:                             ;   in Loop: Header=BB3_3 Depth=1
	s_or_b64 exec, exec, s[16:17]
	v_add_co_u32_e32 v0, vcc, v6, v26
	v_addc_co_u32_e32 v1, vcc, 0, v7, vcc
	s_branch .LBB3_1191
.LBB3_1188:                             ;   in Loop: Header=BB3_1191 Depth=2
	s_or_b64 exec, exec, s[16:17]
	v_readfirstlane_b32 s16, v2
	s_cmp_eq_u32 s16, 0
	s_cbranch_scc1 .LBB3_1190
; %bb.1189:                             ;   in Loop: Header=BB3_1191 Depth=2
	s_sleep 1
	s_cbranch_execnz .LBB3_1191
	s_branch .LBB3_1193
.LBB3_1190:                             ;   in Loop: Header=BB3_3 Depth=1
	s_branch .LBB3_1193
.LBB3_1191:                             ;   Parent Loop BB3_3 Depth=1
                                        ; =>  This Inner Loop Header: Depth=2
	v_mov_b32_e32 v2, 1
	s_and_saveexec_b64 s[16:17], s[4:5]
	s_cbranch_execz .LBB3_1188
; %bb.1192:                             ;   in Loop: Header=BB3_1191 Depth=2
	global_load_dword v2, v[8:9], off offset:20 glc
	s_waitcnt vmcnt(0)
	buffer_wbinvl1_vol
	v_and_b32_e32 v2, 1, v2
	s_branch .LBB3_1188
.LBB3_1193:                             ;   in Loop: Header=BB3_3 Depth=1
	global_load_dwordx2 v[0:1], v[0:1], off
	s_and_saveexec_b64 s[16:17], s[4:5]
	s_cbranch_execz .LBB3_1197
; %bb.1194:                             ;   in Loop: Header=BB3_3 Depth=1
	global_load_dwordx2 v[2:3], v54, s[12:13] offset:40
	global_load_dwordx2 v[13:14], v54, s[12:13] offset:24 glc
	global_load_dwordx2 v[4:5], v54, s[12:13]
	s_waitcnt vmcnt(2)
	v_readfirstlane_b32 s18, v2
	v_readfirstlane_b32 s19, v3
	s_add_u32 s20, s18, 1
	s_addc_u32 s21, s19, 0
	s_add_u32 s4, s20, s14
	s_addc_u32 s5, s21, s15
	s_cmp_eq_u64 s[4:5], 0
	s_cselect_b32 s5, s21, s5
	s_cselect_b32 s4, s20, s4
	s_and_b64 s[14:15], s[4:5], s[18:19]
	s_mul_i32 s15, s15, 24
	s_mul_hi_u32 s18, s14, 24
	s_mul_i32 s14, s14, 24
	s_add_i32 s15, s18, s15
	v_mov_b32_e32 v2, s15
	s_waitcnt vmcnt(0)
	v_add_co_u32_e32 v6, vcc, s14, v4
	v_addc_co_u32_e32 v7, vcc, v5, v2, vcc
	v_mov_b32_e32 v11, s4
	global_store_dwordx2 v[6:7], v[13:14], off
	v_mov_b32_e32 v12, s5
	s_waitcnt vmcnt(0)
	global_atomic_cmpswap_x2 v[4:5], v54, v[11:14], s[12:13] offset:24 glc
	s_waitcnt vmcnt(0)
	v_cmp_ne_u64_e32 vcc, v[4:5], v[13:14]
	s_and_b64 exec, exec, vcc
	s_cbranch_execz .LBB3_1197
; %bb.1195:                             ;   in Loop: Header=BB3_3 Depth=1
	s_mov_b64 s[14:15], 0
.LBB3_1196:                             ;   Parent Loop BB3_3 Depth=1
                                        ; =>  This Inner Loop Header: Depth=2
	s_sleep 1
	global_store_dwordx2 v[6:7], v[4:5], off
	v_mov_b32_e32 v2, s4
	v_mov_b32_e32 v3, s5
	s_waitcnt vmcnt(0)
	global_atomic_cmpswap_x2 v[2:3], v54, v[2:5], s[12:13] offset:24 glc
	s_waitcnt vmcnt(0)
	v_cmp_eq_u64_e32 vcc, v[2:3], v[4:5]
	v_mov_b32_e32 v5, v3
	s_or_b64 s[14:15], vcc, s[14:15]
	v_mov_b32_e32 v4, v2
	s_andn2_b64 exec, exec, s[14:15]
	s_cbranch_execnz .LBB3_1196
.LBB3_1197:                             ;   in Loop: Header=BB3_3 Depth=1
	s_or_b64 exec, exec, s[16:17]
	v_readfirstlane_b32 s4, v47
	v_mov_b32_e32 v2, 0
	v_mov_b32_e32 v3, 0
	v_cmp_eq_u32_e64 s[4:5], s4, v47
	s_and_saveexec_b64 s[14:15], s[4:5]
	s_cbranch_execz .LBB3_1203
; %bb.1198:                             ;   in Loop: Header=BB3_3 Depth=1
	global_load_dwordx2 v[4:5], v54, s[12:13] offset:24 glc
	s_waitcnt vmcnt(0)
	buffer_wbinvl1_vol
	global_load_dwordx2 v[2:3], v54, s[12:13] offset:40
	global_load_dwordx2 v[6:7], v54, s[12:13]
	s_waitcnt vmcnt(1)
	v_and_b32_e32 v2, v2, v4
	v_and_b32_e32 v3, v3, v5
	v_mul_lo_u32 v3, v3, 24
	v_mul_hi_u32 v8, v2, 24
	v_mul_lo_u32 v2, v2, 24
	v_add_u32_e32 v3, v8, v3
	s_waitcnt vmcnt(0)
	v_add_co_u32_e32 v2, vcc, v6, v2
	v_addc_co_u32_e32 v3, vcc, v7, v3, vcc
	global_load_dwordx2 v[2:3], v[2:3], off glc
	s_waitcnt vmcnt(0)
	global_atomic_cmpswap_x2 v[2:3], v54, v[2:5], s[12:13] offset:24 glc
	s_waitcnt vmcnt(0)
	buffer_wbinvl1_vol
	v_cmp_ne_u64_e32 vcc, v[2:3], v[4:5]
	s_and_saveexec_b64 s[16:17], vcc
	s_cbranch_execz .LBB3_1202
; %bb.1199:                             ;   in Loop: Header=BB3_3 Depth=1
	s_mov_b64 s[18:19], 0
.LBB3_1200:                             ;   Parent Loop BB3_3 Depth=1
                                        ; =>  This Inner Loop Header: Depth=2
	s_sleep 1
	global_load_dwordx2 v[6:7], v54, s[12:13] offset:40
	global_load_dwordx2 v[8:9], v54, s[12:13]
	v_mov_b32_e32 v5, v3
	v_mov_b32_e32 v4, v2
	s_waitcnt vmcnt(1)
	v_and_b32_e32 v2, v6, v4
	s_waitcnt vmcnt(0)
	v_mad_u64_u32 v[2:3], s[20:21], v2, 24, v[8:9]
	v_and_b32_e32 v6, v7, v5
	v_mad_u64_u32 v[6:7], s[20:21], v6, 24, v[3:4]
	v_mov_b32_e32 v3, v6
	global_load_dwordx2 v[2:3], v[2:3], off glc
	s_waitcnt vmcnt(0)
	global_atomic_cmpswap_x2 v[2:3], v54, v[2:5], s[12:13] offset:24 glc
	s_waitcnt vmcnt(0)
	buffer_wbinvl1_vol
	v_cmp_eq_u64_e32 vcc, v[2:3], v[4:5]
	s_or_b64 s[18:19], vcc, s[18:19]
	s_andn2_b64 exec, exec, s[18:19]
	s_cbranch_execnz .LBB3_1200
; %bb.1201:                             ;   in Loop: Header=BB3_3 Depth=1
	s_or_b64 exec, exec, s[18:19]
.LBB3_1202:                             ;   in Loop: Header=BB3_3 Depth=1
	s_or_b64 exec, exec, s[16:17]
.LBB3_1203:                             ;   in Loop: Header=BB3_3 Depth=1
	s_or_b64 exec, exec, s[14:15]
	global_load_dwordx2 v[8:9], v54, s[12:13] offset:40
	global_load_dwordx4 v[4:7], v54, s[12:13]
	v_readfirstlane_b32 s15, v3
	v_readfirstlane_b32 s14, v2
	s_mov_b64 s[16:17], exec
	s_waitcnt vmcnt(1)
	v_readfirstlane_b32 s18, v8
	v_readfirstlane_b32 s19, v9
	s_and_b64 s[18:19], s[18:19], s[14:15]
	s_mul_i32 s20, s19, 24
	s_mul_hi_u32 s21, s18, 24
	s_mul_i32 s22, s18, 24
	s_add_i32 s20, s21, s20
	v_mov_b32_e32 v2, s20
	s_waitcnt vmcnt(0)
	v_add_co_u32_e32 v8, vcc, s22, v4
	v_addc_co_u32_e32 v9, vcc, v5, v2, vcc
	s_and_saveexec_b64 s[20:21], s[4:5]
	s_cbranch_execz .LBB3_1205
; %bb.1204:                             ;   in Loop: Header=BB3_3 Depth=1
	v_mov_b32_e32 v38, s17
	v_mov_b32_e32 v37, s16
	global_store_dwordx4 v[8:9], v[37:40], off offset:8
.LBB3_1205:                             ;   in Loop: Header=BB3_3 Depth=1
	s_or_b64 exec, exec, s[20:21]
	s_lshl_b64 s[16:17], s[18:19], 12
	v_mov_b32_e32 v2, s17
	v_add_co_u32_e32 v6, vcc, s16, v6
	v_addc_co_u32_e32 v7, vcc, v7, v2, vcc
	v_and_or_b32 v0, v0, s49, 34
	v_mov_b32_e32 v2, v10
	v_mov_b32_e32 v3, v54
	v_readfirstlane_b32 s16, v6
	v_readfirstlane_b32 s17, v7
	s_mov_b32 s41, s40
	s_mov_b32 s42, s40
	;; [unrolled: 1-line block ×3, first 2 shown]
	s_nop 1
	global_store_dwordx4 v26, v[0:3], s[16:17]
	s_nop 0
	v_mov_b32_e32 v0, s40
	v_mov_b32_e32 v1, s41
	;; [unrolled: 1-line block ×4, first 2 shown]
	global_store_dwordx4 v26, v[0:3], s[16:17] offset:16
	global_store_dwordx4 v26, v[0:3], s[16:17] offset:32
	;; [unrolled: 1-line block ×3, first 2 shown]
	s_and_saveexec_b64 s[16:17], s[4:5]
	s_cbranch_execz .LBB3_1213
; %bb.1206:                             ;   in Loop: Header=BB3_3 Depth=1
	global_load_dwordx2 v[12:13], v54, s[12:13] offset:32 glc
	global_load_dwordx2 v[0:1], v54, s[12:13] offset:40
	v_mov_b32_e32 v10, s14
	v_mov_b32_e32 v11, s15
	s_waitcnt vmcnt(0)
	v_readfirstlane_b32 s18, v0
	v_readfirstlane_b32 s19, v1
	s_and_b64 s[18:19], s[18:19], s[14:15]
	s_mul_i32 s19, s19, 24
	s_mul_hi_u32 s20, s18, 24
	s_mul_i32 s18, s18, 24
	s_add_i32 s19, s20, s19
	v_mov_b32_e32 v0, s19
	v_add_co_u32_e32 v4, vcc, s18, v4
	v_addc_co_u32_e32 v5, vcc, v5, v0, vcc
	global_store_dwordx2 v[4:5], v[12:13], off
	s_waitcnt vmcnt(0)
	global_atomic_cmpswap_x2 v[2:3], v54, v[10:13], s[12:13] offset:32 glc
	s_waitcnt vmcnt(0)
	v_cmp_ne_u64_e32 vcc, v[2:3], v[12:13]
	s_and_saveexec_b64 s[18:19], vcc
	s_cbranch_execz .LBB3_1209
; %bb.1207:                             ;   in Loop: Header=BB3_3 Depth=1
	s_mov_b64 s[20:21], 0
.LBB3_1208:                             ;   Parent Loop BB3_3 Depth=1
                                        ; =>  This Inner Loop Header: Depth=2
	s_sleep 1
	global_store_dwordx2 v[4:5], v[2:3], off
	v_mov_b32_e32 v0, s14
	v_mov_b32_e32 v1, s15
	s_waitcnt vmcnt(0)
	global_atomic_cmpswap_x2 v[0:1], v54, v[0:3], s[12:13] offset:32 glc
	s_waitcnt vmcnt(0)
	v_cmp_eq_u64_e32 vcc, v[0:1], v[2:3]
	v_mov_b32_e32 v3, v1
	s_or_b64 s[20:21], vcc, s[20:21]
	v_mov_b32_e32 v2, v0
	s_andn2_b64 exec, exec, s[20:21]
	s_cbranch_execnz .LBB3_1208
.LBB3_1209:                             ;   in Loop: Header=BB3_3 Depth=1
	s_or_b64 exec, exec, s[18:19]
	global_load_dwordx2 v[0:1], v54, s[12:13] offset:16
	s_mov_b64 s[20:21], exec
	v_mbcnt_lo_u32_b32 v2, s20, 0
	v_mbcnt_hi_u32_b32 v2, s21, v2
	v_cmp_eq_u32_e32 vcc, 0, v2
	s_and_saveexec_b64 s[18:19], vcc
	s_cbranch_execz .LBB3_1211
; %bb.1210:                             ;   in Loop: Header=BB3_3 Depth=1
	s_bcnt1_i32_b64 s20, s[20:21]
	v_mov_b32_e32 v53, s20
	s_waitcnt vmcnt(0)
	global_atomic_add_x2 v[0:1], v[53:54], off offset:8
.LBB3_1211:                             ;   in Loop: Header=BB3_3 Depth=1
	s_or_b64 exec, exec, s[18:19]
	s_waitcnt vmcnt(0)
	global_load_dwordx2 v[2:3], v[0:1], off offset:16
	s_waitcnt vmcnt(0)
	v_cmp_eq_u64_e32 vcc, 0, v[2:3]
	s_cbranch_vccnz .LBB3_1213
; %bb.1212:                             ;   in Loop: Header=BB3_3 Depth=1
	global_load_dword v53, v[0:1], off offset:24
	s_waitcnt vmcnt(0)
	v_readfirstlane_b32 s18, v53
	s_and_b32 m0, s18, 0xffffff
	global_store_dwordx2 v[2:3], v[53:54], off
	s_sendmsg sendmsg(MSG_INTERRUPT)
.LBB3_1213:                             ;   in Loop: Header=BB3_3 Depth=1
	s_or_b64 exec, exec, s[16:17]
	v_add_co_u32_e32 v0, vcc, v6, v26
	v_addc_co_u32_e32 v1, vcc, 0, v7, vcc
	s_branch .LBB3_1217
.LBB3_1214:                             ;   in Loop: Header=BB3_1217 Depth=2
	s_or_b64 exec, exec, s[16:17]
	v_readfirstlane_b32 s16, v2
	s_cmp_eq_u32 s16, 0
	s_cbranch_scc1 .LBB3_1216
; %bb.1215:                             ;   in Loop: Header=BB3_1217 Depth=2
	s_sleep 1
	s_cbranch_execnz .LBB3_1217
	s_branch .LBB3_1219
.LBB3_1216:                             ;   in Loop: Header=BB3_3 Depth=1
	s_branch .LBB3_1219
.LBB3_1217:                             ;   Parent Loop BB3_3 Depth=1
                                        ; =>  This Inner Loop Header: Depth=2
	v_mov_b32_e32 v2, 1
	s_and_saveexec_b64 s[16:17], s[4:5]
	s_cbranch_execz .LBB3_1214
; %bb.1218:                             ;   in Loop: Header=BB3_1217 Depth=2
	global_load_dword v2, v[8:9], off offset:20 glc
	s_waitcnt vmcnt(0)
	buffer_wbinvl1_vol
	v_and_b32_e32 v2, 1, v2
	s_branch .LBB3_1214
.LBB3_1219:                             ;   in Loop: Header=BB3_3 Depth=1
	global_load_dwordx2 v[0:1], v[0:1], off
	s_and_saveexec_b64 s[16:17], s[4:5]
	s_cbranch_execz .LBB3_1223
; %bb.1220:                             ;   in Loop: Header=BB3_3 Depth=1
	global_load_dwordx2 v[1:2], v54, s[12:13] offset:40
	global_load_dwordx2 v[9:10], v54, s[12:13] offset:24 glc
	global_load_dwordx2 v[3:4], v54, s[12:13]
	s_waitcnt vmcnt(2)
	v_readfirstlane_b32 s18, v1
	v_readfirstlane_b32 s19, v2
	s_add_u32 s20, s18, 1
	s_addc_u32 s21, s19, 0
	s_add_u32 s4, s20, s14
	s_addc_u32 s5, s21, s15
	s_cmp_eq_u64 s[4:5], 0
	s_cselect_b32 s5, s21, s5
	s_cselect_b32 s4, s20, s4
	s_and_b64 s[14:15], s[4:5], s[18:19]
	s_mul_i32 s15, s15, 24
	s_mul_hi_u32 s18, s14, 24
	s_mul_i32 s14, s14, 24
	s_add_i32 s15, s18, s15
	v_mov_b32_e32 v1, s15
	s_waitcnt vmcnt(0)
	v_add_co_u32_e32 v5, vcc, s14, v3
	v_addc_co_u32_e32 v6, vcc, v4, v1, vcc
	v_mov_b32_e32 v7, s4
	global_store_dwordx2 v[5:6], v[9:10], off
	v_mov_b32_e32 v8, s5
	s_waitcnt vmcnt(0)
	global_atomic_cmpswap_x2 v[3:4], v54, v[7:10], s[12:13] offset:24 glc
	s_waitcnt vmcnt(0)
	v_cmp_ne_u64_e32 vcc, v[3:4], v[9:10]
	s_and_b64 exec, exec, vcc
	s_cbranch_execz .LBB3_1223
; %bb.1221:                             ;   in Loop: Header=BB3_3 Depth=1
	s_mov_b64 s[14:15], 0
.LBB3_1222:                             ;   Parent Loop BB3_3 Depth=1
                                        ; =>  This Inner Loop Header: Depth=2
	s_sleep 1
	global_store_dwordx2 v[5:6], v[3:4], off
	v_mov_b32_e32 v1, s4
	v_mov_b32_e32 v2, s5
	s_waitcnt vmcnt(0)
	global_atomic_cmpswap_x2 v[1:2], v54, v[1:4], s[12:13] offset:24 glc
	s_waitcnt vmcnt(0)
	v_cmp_eq_u64_e32 vcc, v[1:2], v[3:4]
	v_mov_b32_e32 v4, v2
	s_or_b64 s[14:15], vcc, s[14:15]
	v_mov_b32_e32 v3, v1
	s_andn2_b64 exec, exec, s[14:15]
	s_cbranch_execnz .LBB3_1222
.LBB3_1223:                             ;   in Loop: Header=BB3_3 Depth=1
	s_or_b64 exec, exec, s[16:17]
	s_or_b64 exec, exec, s[10:11]
                                        ; implicit-def: $vgpr25
	s_andn2_saveexec_b64 s[8:9], s[8:9]
	s_cbranch_execnz .LBB3_914
	s_branch .LBB3_1552
.LBB3_1224:                             ;   in Loop: Header=BB3_3 Depth=1
                                        ; implicit-def: $vgpr2_vgpr3
	s_cbranch_execz .LBB3_1252
; %bb.1225:                             ;   in Loop: Header=BB3_3 Depth=1
	v_readfirstlane_b32 s4, v47
	s_waitcnt vmcnt(0)
	v_mov_b32_e32 v2, 0
	v_mov_b32_e32 v3, 0
	v_cmp_eq_u32_e64 s[4:5], s4, v47
	s_and_saveexec_b64 s[14:15], s[4:5]
	s_cbranch_execz .LBB3_1231
; %bb.1226:                             ;   in Loop: Header=BB3_3 Depth=1
	global_load_dwordx2 v[4:5], v54, s[12:13] offset:24 glc
	s_waitcnt vmcnt(0)
	buffer_wbinvl1_vol
	global_load_dwordx2 v[2:3], v54, s[12:13] offset:40
	global_load_dwordx2 v[6:7], v54, s[12:13]
	s_waitcnt vmcnt(1)
	v_and_b32_e32 v2, v2, v4
	v_and_b32_e32 v3, v3, v5
	v_mul_lo_u32 v3, v3, 24
	v_mul_hi_u32 v8, v2, 24
	v_mul_lo_u32 v2, v2, 24
	v_add_u32_e32 v3, v8, v3
	s_waitcnt vmcnt(0)
	v_add_co_u32_e32 v2, vcc, v6, v2
	v_addc_co_u32_e32 v3, vcc, v7, v3, vcc
	global_load_dwordx2 v[2:3], v[2:3], off glc
	s_waitcnt vmcnt(0)
	global_atomic_cmpswap_x2 v[2:3], v54, v[2:5], s[12:13] offset:24 glc
	s_waitcnt vmcnt(0)
	buffer_wbinvl1_vol
	v_cmp_ne_u64_e32 vcc, v[2:3], v[4:5]
	s_and_saveexec_b64 s[16:17], vcc
	s_cbranch_execz .LBB3_1230
; %bb.1227:                             ;   in Loop: Header=BB3_3 Depth=1
	s_mov_b64 s[18:19], 0
.LBB3_1228:                             ;   Parent Loop BB3_3 Depth=1
                                        ; =>  This Inner Loop Header: Depth=2
	s_sleep 1
	global_load_dwordx2 v[6:7], v54, s[12:13] offset:40
	global_load_dwordx2 v[8:9], v54, s[12:13]
	v_mov_b32_e32 v5, v3
	v_mov_b32_e32 v4, v2
	s_waitcnt vmcnt(1)
	v_and_b32_e32 v2, v6, v4
	s_waitcnt vmcnt(0)
	v_mad_u64_u32 v[2:3], s[20:21], v2, 24, v[8:9]
	v_and_b32_e32 v6, v7, v5
	v_mad_u64_u32 v[6:7], s[20:21], v6, 24, v[3:4]
	v_mov_b32_e32 v3, v6
	global_load_dwordx2 v[2:3], v[2:3], off glc
	s_waitcnt vmcnt(0)
	global_atomic_cmpswap_x2 v[2:3], v54, v[2:5], s[12:13] offset:24 glc
	s_waitcnt vmcnt(0)
	buffer_wbinvl1_vol
	v_cmp_eq_u64_e32 vcc, v[2:3], v[4:5]
	s_or_b64 s[18:19], vcc, s[18:19]
	s_andn2_b64 exec, exec, s[18:19]
	s_cbranch_execnz .LBB3_1228
; %bb.1229:                             ;   in Loop: Header=BB3_3 Depth=1
	s_or_b64 exec, exec, s[18:19]
.LBB3_1230:                             ;   in Loop: Header=BB3_3 Depth=1
	s_or_b64 exec, exec, s[16:17]
.LBB3_1231:                             ;   in Loop: Header=BB3_3 Depth=1
	s_or_b64 exec, exec, s[14:15]
	global_load_dwordx2 v[8:9], v54, s[12:13] offset:40
	global_load_dwordx4 v[4:7], v54, s[12:13]
	v_readfirstlane_b32 s15, v3
	v_readfirstlane_b32 s14, v2
	s_mov_b64 s[16:17], exec
	s_waitcnt vmcnt(1)
	v_readfirstlane_b32 s18, v8
	v_readfirstlane_b32 s19, v9
	s_and_b64 s[18:19], s[18:19], s[14:15]
	s_mul_i32 s20, s19, 24
	s_mul_hi_u32 s21, s18, 24
	s_mul_i32 s22, s18, 24
	s_add_i32 s20, s21, s20
	v_mov_b32_e32 v2, s20
	s_waitcnt vmcnt(0)
	v_add_co_u32_e32 v8, vcc, s22, v4
	v_addc_co_u32_e32 v9, vcc, v5, v2, vcc
	s_and_saveexec_b64 s[20:21], s[4:5]
	s_cbranch_execz .LBB3_1233
; %bb.1232:                             ;   in Loop: Header=BB3_3 Depth=1
	v_mov_b32_e32 v38, s17
	v_mov_b32_e32 v37, s16
	global_store_dwordx4 v[8:9], v[37:40], off offset:8
.LBB3_1233:                             ;   in Loop: Header=BB3_3 Depth=1
	s_or_b64 exec, exec, s[20:21]
	s_lshl_b64 s[16:17], s[18:19], 12
	v_mov_b32_e32 v2, s17
	v_add_co_u32_e32 v6, vcc, s16, v6
	v_addc_co_u32_e32 v7, vcc, v7, v2, vcc
	v_and_or_b32 v0, v0, s48, 32
	v_mov_b32_e32 v2, v54
	v_mov_b32_e32 v3, v54
	v_readfirstlane_b32 s16, v6
	v_readfirstlane_b32 s17, v7
	s_mov_b32 s41, s40
	s_mov_b32 s42, s40
	;; [unrolled: 1-line block ×3, first 2 shown]
	s_nop 1
	global_store_dwordx4 v26, v[0:3], s[16:17]
	s_nop 0
	v_mov_b32_e32 v0, s40
	v_mov_b32_e32 v1, s41
	;; [unrolled: 1-line block ×4, first 2 shown]
	global_store_dwordx4 v26, v[0:3], s[16:17] offset:16
	global_store_dwordx4 v26, v[0:3], s[16:17] offset:32
	;; [unrolled: 1-line block ×3, first 2 shown]
	s_and_saveexec_b64 s[16:17], s[4:5]
	s_cbranch_execz .LBB3_1241
; %bb.1234:                             ;   in Loop: Header=BB3_3 Depth=1
	global_load_dwordx2 v[12:13], v54, s[12:13] offset:32 glc
	global_load_dwordx2 v[0:1], v54, s[12:13] offset:40
	v_mov_b32_e32 v10, s14
	v_mov_b32_e32 v11, s15
	s_waitcnt vmcnt(0)
	v_readfirstlane_b32 s18, v0
	v_readfirstlane_b32 s19, v1
	s_and_b64 s[18:19], s[18:19], s[14:15]
	s_mul_i32 s19, s19, 24
	s_mul_hi_u32 s20, s18, 24
	s_mul_i32 s18, s18, 24
	s_add_i32 s19, s20, s19
	v_mov_b32_e32 v0, s19
	v_add_co_u32_e32 v4, vcc, s18, v4
	v_addc_co_u32_e32 v5, vcc, v5, v0, vcc
	global_store_dwordx2 v[4:5], v[12:13], off
	s_waitcnt vmcnt(0)
	global_atomic_cmpswap_x2 v[2:3], v54, v[10:13], s[12:13] offset:32 glc
	s_waitcnt vmcnt(0)
	v_cmp_ne_u64_e32 vcc, v[2:3], v[12:13]
	s_and_saveexec_b64 s[18:19], vcc
	s_cbranch_execz .LBB3_1237
; %bb.1235:                             ;   in Loop: Header=BB3_3 Depth=1
	s_mov_b64 s[20:21], 0
.LBB3_1236:                             ;   Parent Loop BB3_3 Depth=1
                                        ; =>  This Inner Loop Header: Depth=2
	s_sleep 1
	global_store_dwordx2 v[4:5], v[2:3], off
	v_mov_b32_e32 v0, s14
	v_mov_b32_e32 v1, s15
	s_waitcnt vmcnt(0)
	global_atomic_cmpswap_x2 v[0:1], v54, v[0:3], s[12:13] offset:32 glc
	s_waitcnt vmcnt(0)
	v_cmp_eq_u64_e32 vcc, v[0:1], v[2:3]
	v_mov_b32_e32 v3, v1
	s_or_b64 s[20:21], vcc, s[20:21]
	v_mov_b32_e32 v2, v0
	s_andn2_b64 exec, exec, s[20:21]
	s_cbranch_execnz .LBB3_1236
.LBB3_1237:                             ;   in Loop: Header=BB3_3 Depth=1
	s_or_b64 exec, exec, s[18:19]
	global_load_dwordx2 v[0:1], v54, s[12:13] offset:16
	s_mov_b64 s[20:21], exec
	v_mbcnt_lo_u32_b32 v2, s20, 0
	v_mbcnt_hi_u32_b32 v2, s21, v2
	v_cmp_eq_u32_e32 vcc, 0, v2
	s_and_saveexec_b64 s[18:19], vcc
	s_cbranch_execz .LBB3_1239
; %bb.1238:                             ;   in Loop: Header=BB3_3 Depth=1
	s_bcnt1_i32_b64 s20, s[20:21]
	v_mov_b32_e32 v53, s20
	s_waitcnt vmcnt(0)
	global_atomic_add_x2 v[0:1], v[53:54], off offset:8
.LBB3_1239:                             ;   in Loop: Header=BB3_3 Depth=1
	s_or_b64 exec, exec, s[18:19]
	s_waitcnt vmcnt(0)
	global_load_dwordx2 v[2:3], v[0:1], off offset:16
	s_waitcnt vmcnt(0)
	v_cmp_eq_u64_e32 vcc, 0, v[2:3]
	s_cbranch_vccnz .LBB3_1241
; %bb.1240:                             ;   in Loop: Header=BB3_3 Depth=1
	global_load_dword v53, v[0:1], off offset:24
	s_waitcnt vmcnt(0)
	v_readfirstlane_b32 s18, v53
	s_and_b32 m0, s18, 0xffffff
	global_store_dwordx2 v[2:3], v[53:54], off
	s_sendmsg sendmsg(MSG_INTERRUPT)
.LBB3_1241:                             ;   in Loop: Header=BB3_3 Depth=1
	s_or_b64 exec, exec, s[16:17]
	v_add_co_u32_e32 v0, vcc, v6, v26
	v_addc_co_u32_e32 v1, vcc, 0, v7, vcc
	s_branch .LBB3_1245
.LBB3_1242:                             ;   in Loop: Header=BB3_1245 Depth=2
	s_or_b64 exec, exec, s[16:17]
	v_readfirstlane_b32 s16, v2
	s_cmp_eq_u32 s16, 0
	s_cbranch_scc1 .LBB3_1244
; %bb.1243:                             ;   in Loop: Header=BB3_1245 Depth=2
	s_sleep 1
	s_cbranch_execnz .LBB3_1245
	s_branch .LBB3_1247
.LBB3_1244:                             ;   in Loop: Header=BB3_3 Depth=1
	s_branch .LBB3_1247
.LBB3_1245:                             ;   Parent Loop BB3_3 Depth=1
                                        ; =>  This Inner Loop Header: Depth=2
	v_mov_b32_e32 v2, 1
	s_and_saveexec_b64 s[16:17], s[4:5]
	s_cbranch_execz .LBB3_1242
; %bb.1246:                             ;   in Loop: Header=BB3_1245 Depth=2
	global_load_dword v2, v[8:9], off offset:20 glc
	s_waitcnt vmcnt(0)
	buffer_wbinvl1_vol
	v_and_b32_e32 v2, 1, v2
	s_branch .LBB3_1242
.LBB3_1247:                             ;   in Loop: Header=BB3_3 Depth=1
	global_load_dwordx2 v[2:3], v[0:1], off
	s_and_saveexec_b64 s[16:17], s[4:5]
	s_cbranch_execz .LBB3_1251
; %bb.1248:                             ;   in Loop: Header=BB3_3 Depth=1
	global_load_dwordx2 v[0:1], v54, s[12:13] offset:40
	global_load_dwordx2 v[8:9], v54, s[12:13] offset:24 glc
	global_load_dwordx2 v[4:5], v54, s[12:13]
	s_waitcnt vmcnt(2)
	v_readfirstlane_b32 s18, v0
	v_readfirstlane_b32 s19, v1
	s_add_u32 s20, s18, 1
	s_addc_u32 s21, s19, 0
	s_add_u32 s4, s20, s14
	s_addc_u32 s5, s21, s15
	s_cmp_eq_u64 s[4:5], 0
	s_cselect_b32 s5, s21, s5
	s_cselect_b32 s4, s20, s4
	s_and_b64 s[14:15], s[4:5], s[18:19]
	s_mul_i32 s15, s15, 24
	s_mul_hi_u32 s18, s14, 24
	s_mul_i32 s14, s14, 24
	s_add_i32 s15, s18, s15
	v_mov_b32_e32 v1, s15
	s_waitcnt vmcnt(0)
	v_add_co_u32_e32 v0, vcc, s14, v4
	v_addc_co_u32_e32 v1, vcc, v5, v1, vcc
	v_mov_b32_e32 v6, s4
	global_store_dwordx2 v[0:1], v[8:9], off
	v_mov_b32_e32 v7, s5
	s_waitcnt vmcnt(0)
	global_atomic_cmpswap_x2 v[6:7], v54, v[6:9], s[12:13] offset:24 glc
	s_waitcnt vmcnt(0)
	v_cmp_ne_u64_e32 vcc, v[6:7], v[8:9]
	s_and_b64 exec, exec, vcc
	s_cbranch_execz .LBB3_1251
; %bb.1249:                             ;   in Loop: Header=BB3_3 Depth=1
	s_mov_b64 s[14:15], 0
.LBB3_1250:                             ;   Parent Loop BB3_3 Depth=1
                                        ; =>  This Inner Loop Header: Depth=2
	s_sleep 1
	global_store_dwordx2 v[0:1], v[6:7], off
	v_mov_b32_e32 v4, s4
	v_mov_b32_e32 v5, s5
	s_waitcnt vmcnt(0)
	global_atomic_cmpswap_x2 v[4:5], v54, v[4:7], s[12:13] offset:24 glc
	s_waitcnt vmcnt(0)
	v_cmp_eq_u64_e32 vcc, v[4:5], v[6:7]
	v_mov_b32_e32 v7, v5
	s_or_b64 s[14:15], vcc, s[14:15]
	v_mov_b32_e32 v6, v4
	s_andn2_b64 exec, exec, s[14:15]
	s_cbranch_execnz .LBB3_1250
.LBB3_1251:                             ;   in Loop: Header=BB3_3 Depth=1
	s_or_b64 exec, exec, s[16:17]
.LBB3_1252:                             ;   in Loop: Header=BB3_3 Depth=1
	v_readfirstlane_b32 s4, v47
	s_waitcnt vmcnt(0)
	v_mov_b32_e32 v0, 0
	v_mov_b32_e32 v1, 0
	v_cmp_eq_u32_e64 s[4:5], s4, v47
	s_and_saveexec_b64 s[14:15], s[4:5]
	s_cbranch_execz .LBB3_1258
; %bb.1253:                             ;   in Loop: Header=BB3_3 Depth=1
	global_load_dwordx2 v[6:7], v54, s[12:13] offset:24 glc
	s_waitcnt vmcnt(0)
	buffer_wbinvl1_vol
	global_load_dwordx2 v[0:1], v54, s[12:13] offset:40
	global_load_dwordx2 v[4:5], v54, s[12:13]
	s_waitcnt vmcnt(1)
	v_and_b32_e32 v0, v0, v6
	v_and_b32_e32 v1, v1, v7
	v_mul_lo_u32 v1, v1, 24
	v_mul_hi_u32 v8, v0, 24
	v_mul_lo_u32 v0, v0, 24
	v_add_u32_e32 v1, v8, v1
	s_waitcnt vmcnt(0)
	v_add_co_u32_e32 v0, vcc, v4, v0
	v_addc_co_u32_e32 v1, vcc, v5, v1, vcc
	global_load_dwordx2 v[4:5], v[0:1], off glc
	s_waitcnt vmcnt(0)
	global_atomic_cmpswap_x2 v[0:1], v54, v[4:7], s[12:13] offset:24 glc
	s_waitcnt vmcnt(0)
	buffer_wbinvl1_vol
	v_cmp_ne_u64_e32 vcc, v[0:1], v[6:7]
	s_and_saveexec_b64 s[16:17], vcc
	s_cbranch_execz .LBB3_1257
; %bb.1254:                             ;   in Loop: Header=BB3_3 Depth=1
	s_mov_b64 s[18:19], 0
.LBB3_1255:                             ;   Parent Loop BB3_3 Depth=1
                                        ; =>  This Inner Loop Header: Depth=2
	s_sleep 1
	global_load_dwordx2 v[4:5], v54, s[12:13] offset:40
	global_load_dwordx2 v[8:9], v54, s[12:13]
	v_mov_b32_e32 v7, v1
	v_mov_b32_e32 v6, v0
	s_waitcnt vmcnt(1)
	v_and_b32_e32 v0, v4, v6
	s_waitcnt vmcnt(0)
	v_mad_u64_u32 v[0:1], s[20:21], v0, 24, v[8:9]
	v_and_b32_e32 v4, v5, v7
	v_mad_u64_u32 v[4:5], s[20:21], v4, 24, v[1:2]
	v_mov_b32_e32 v1, v4
	global_load_dwordx2 v[4:5], v[0:1], off glc
	s_waitcnt vmcnt(0)
	global_atomic_cmpswap_x2 v[0:1], v54, v[4:7], s[12:13] offset:24 glc
	s_waitcnt vmcnt(0)
	buffer_wbinvl1_vol
	v_cmp_eq_u64_e32 vcc, v[0:1], v[6:7]
	s_or_b64 s[18:19], vcc, s[18:19]
	s_andn2_b64 exec, exec, s[18:19]
	s_cbranch_execnz .LBB3_1255
; %bb.1256:                             ;   in Loop: Header=BB3_3 Depth=1
	s_or_b64 exec, exec, s[18:19]
.LBB3_1257:                             ;   in Loop: Header=BB3_3 Depth=1
	s_or_b64 exec, exec, s[16:17]
.LBB3_1258:                             ;   in Loop: Header=BB3_3 Depth=1
	s_or_b64 exec, exec, s[14:15]
	global_load_dwordx2 v[4:5], v54, s[12:13] offset:40
	global_load_dwordx4 v[6:9], v54, s[12:13]
	v_readfirstlane_b32 s15, v1
	v_readfirstlane_b32 s14, v0
	s_mov_b64 s[16:17], exec
	s_waitcnt vmcnt(1)
	v_readfirstlane_b32 s18, v4
	v_readfirstlane_b32 s19, v5
	s_and_b64 s[18:19], s[18:19], s[14:15]
	s_mul_i32 s20, s19, 24
	s_mul_hi_u32 s21, s18, 24
	s_mul_i32 s22, s18, 24
	s_add_i32 s20, s21, s20
	v_mov_b32_e32 v0, s20
	s_waitcnt vmcnt(0)
	v_add_co_u32_e32 v10, vcc, s22, v6
	v_addc_co_u32_e32 v11, vcc, v7, v0, vcc
	s_and_saveexec_b64 s[20:21], s[4:5]
	s_cbranch_execz .LBB3_1260
; %bb.1259:                             ;   in Loop: Header=BB3_3 Depth=1
	v_mov_b32_e32 v38, s17
	v_mov_b32_e32 v37, s16
	global_store_dwordx4 v[10:11], v[37:40], off offset:8
.LBB3_1260:                             ;   in Loop: Header=BB3_3 Depth=1
	s_or_b64 exec, exec, s[20:21]
	s_lshl_b64 s[16:17], s[18:19], 12
	v_mov_b32_e32 v0, s17
	v_add_co_u32_e32 v8, vcc, s16, v8
	v_addc_co_u32_e32 v9, vcc, v9, v0, vcc
	v_and_or_b32 v2, v2, s48, 32
	v_mov_b32_e32 v4, v50
	v_mov_b32_e32 v5, v51
	v_readfirstlane_b32 s16, v8
	v_readfirstlane_b32 s17, v9
	s_mov_b32 s41, s40
	s_mov_b32 s42, s40
	;; [unrolled: 1-line block ×3, first 2 shown]
	s_nop 1
	global_store_dwordx4 v26, v[2:5], s[16:17]
	v_mov_b32_e32 v0, s40
	v_mov_b32_e32 v1, s41
	;; [unrolled: 1-line block ×4, first 2 shown]
	global_store_dwordx4 v26, v[0:3], s[16:17] offset:16
	global_store_dwordx4 v26, v[0:3], s[16:17] offset:32
	;; [unrolled: 1-line block ×3, first 2 shown]
	s_and_saveexec_b64 s[16:17], s[4:5]
	s_cbranch_execz .LBB3_1268
; %bb.1261:                             ;   in Loop: Header=BB3_3 Depth=1
	global_load_dwordx2 v[14:15], v54, s[12:13] offset:32 glc
	global_load_dwordx2 v[0:1], v54, s[12:13] offset:40
	v_mov_b32_e32 v12, s14
	v_mov_b32_e32 v13, s15
	s_waitcnt vmcnt(0)
	v_readfirstlane_b32 s18, v0
	v_readfirstlane_b32 s19, v1
	s_and_b64 s[18:19], s[18:19], s[14:15]
	s_mul_i32 s19, s19, 24
	s_mul_hi_u32 s20, s18, 24
	s_mul_i32 s18, s18, 24
	s_add_i32 s19, s20, s19
	v_mov_b32_e32 v0, s19
	v_add_co_u32_e32 v4, vcc, s18, v6
	v_addc_co_u32_e32 v5, vcc, v7, v0, vcc
	global_store_dwordx2 v[4:5], v[14:15], off
	s_waitcnt vmcnt(0)
	global_atomic_cmpswap_x2 v[2:3], v54, v[12:15], s[12:13] offset:32 glc
	s_waitcnt vmcnt(0)
	v_cmp_ne_u64_e32 vcc, v[2:3], v[14:15]
	s_and_saveexec_b64 s[18:19], vcc
	s_cbranch_execz .LBB3_1264
; %bb.1262:                             ;   in Loop: Header=BB3_3 Depth=1
	s_mov_b64 s[20:21], 0
.LBB3_1263:                             ;   Parent Loop BB3_3 Depth=1
                                        ; =>  This Inner Loop Header: Depth=2
	s_sleep 1
	global_store_dwordx2 v[4:5], v[2:3], off
	v_mov_b32_e32 v0, s14
	v_mov_b32_e32 v1, s15
	s_waitcnt vmcnt(0)
	global_atomic_cmpswap_x2 v[0:1], v54, v[0:3], s[12:13] offset:32 glc
	s_waitcnt vmcnt(0)
	v_cmp_eq_u64_e32 vcc, v[0:1], v[2:3]
	v_mov_b32_e32 v3, v1
	s_or_b64 s[20:21], vcc, s[20:21]
	v_mov_b32_e32 v2, v0
	s_andn2_b64 exec, exec, s[20:21]
	s_cbranch_execnz .LBB3_1263
.LBB3_1264:                             ;   in Loop: Header=BB3_3 Depth=1
	s_or_b64 exec, exec, s[18:19]
	global_load_dwordx2 v[0:1], v54, s[12:13] offset:16
	s_mov_b64 s[20:21], exec
	v_mbcnt_lo_u32_b32 v2, s20, 0
	v_mbcnt_hi_u32_b32 v2, s21, v2
	v_cmp_eq_u32_e32 vcc, 0, v2
	s_and_saveexec_b64 s[18:19], vcc
	s_cbranch_execz .LBB3_1266
; %bb.1265:                             ;   in Loop: Header=BB3_3 Depth=1
	s_bcnt1_i32_b64 s20, s[20:21]
	v_mov_b32_e32 v53, s20
	s_waitcnt vmcnt(0)
	global_atomic_add_x2 v[0:1], v[53:54], off offset:8
.LBB3_1266:                             ;   in Loop: Header=BB3_3 Depth=1
	s_or_b64 exec, exec, s[18:19]
	s_waitcnt vmcnt(0)
	global_load_dwordx2 v[2:3], v[0:1], off offset:16
	s_waitcnt vmcnt(0)
	v_cmp_eq_u64_e32 vcc, 0, v[2:3]
	s_cbranch_vccnz .LBB3_1268
; %bb.1267:                             ;   in Loop: Header=BB3_3 Depth=1
	global_load_dword v53, v[0:1], off offset:24
	s_waitcnt vmcnt(0)
	v_readfirstlane_b32 s18, v53
	s_and_b32 m0, s18, 0xffffff
	global_store_dwordx2 v[2:3], v[53:54], off
	s_sendmsg sendmsg(MSG_INTERRUPT)
.LBB3_1268:                             ;   in Loop: Header=BB3_3 Depth=1
	s_or_b64 exec, exec, s[16:17]
	v_add_co_u32_e32 v0, vcc, v8, v26
	v_addc_co_u32_e32 v1, vcc, 0, v9, vcc
	s_branch .LBB3_1272
.LBB3_1269:                             ;   in Loop: Header=BB3_1272 Depth=2
	s_or_b64 exec, exec, s[16:17]
	v_readfirstlane_b32 s16, v2
	s_cmp_eq_u32 s16, 0
	s_cbranch_scc1 .LBB3_1271
; %bb.1270:                             ;   in Loop: Header=BB3_1272 Depth=2
	s_sleep 1
	s_cbranch_execnz .LBB3_1272
	s_branch .LBB3_1274
.LBB3_1271:                             ;   in Loop: Header=BB3_3 Depth=1
	s_branch .LBB3_1274
.LBB3_1272:                             ;   Parent Loop BB3_3 Depth=1
                                        ; =>  This Inner Loop Header: Depth=2
	v_mov_b32_e32 v2, 1
	s_and_saveexec_b64 s[16:17], s[4:5]
	s_cbranch_execz .LBB3_1269
; %bb.1273:                             ;   in Loop: Header=BB3_1272 Depth=2
	global_load_dword v2, v[10:11], off offset:20 glc
	s_waitcnt vmcnt(0)
	buffer_wbinvl1_vol
	v_and_b32_e32 v2, 1, v2
	s_branch .LBB3_1269
.LBB3_1274:                             ;   in Loop: Header=BB3_3 Depth=1
	global_load_dwordx2 v[0:1], v[0:1], off
	s_and_saveexec_b64 s[16:17], s[4:5]
	s_cbranch_execz .LBB3_1278
; %bb.1275:                             ;   in Loop: Header=BB3_3 Depth=1
	global_load_dwordx2 v[2:3], v54, s[12:13] offset:40
	global_load_dwordx2 v[10:11], v54, s[12:13] offset:24 glc
	global_load_dwordx2 v[4:5], v54, s[12:13]
	s_waitcnt vmcnt(2)
	v_readfirstlane_b32 s18, v2
	v_readfirstlane_b32 s19, v3
	s_add_u32 s20, s18, 1
	s_addc_u32 s21, s19, 0
	s_add_u32 s4, s20, s14
	s_addc_u32 s5, s21, s15
	s_cmp_eq_u64 s[4:5], 0
	s_cselect_b32 s5, s21, s5
	s_cselect_b32 s4, s20, s4
	s_and_b64 s[14:15], s[4:5], s[18:19]
	s_mul_i32 s15, s15, 24
	s_mul_hi_u32 s18, s14, 24
	s_mul_i32 s14, s14, 24
	s_add_i32 s15, s18, s15
	v_mov_b32_e32 v2, s15
	s_waitcnt vmcnt(0)
	v_add_co_u32_e32 v6, vcc, s14, v4
	v_addc_co_u32_e32 v7, vcc, v5, v2, vcc
	v_mov_b32_e32 v8, s4
	global_store_dwordx2 v[6:7], v[10:11], off
	v_mov_b32_e32 v9, s5
	s_waitcnt vmcnt(0)
	global_atomic_cmpswap_x2 v[4:5], v54, v[8:11], s[12:13] offset:24 glc
	s_waitcnt vmcnt(0)
	v_cmp_ne_u64_e32 vcc, v[4:5], v[10:11]
	s_and_b64 exec, exec, vcc
	s_cbranch_execz .LBB3_1278
; %bb.1276:                             ;   in Loop: Header=BB3_3 Depth=1
	s_mov_b64 s[14:15], 0
.LBB3_1277:                             ;   Parent Loop BB3_3 Depth=1
                                        ; =>  This Inner Loop Header: Depth=2
	s_sleep 1
	global_store_dwordx2 v[6:7], v[4:5], off
	v_mov_b32_e32 v2, s4
	v_mov_b32_e32 v3, s5
	s_waitcnt vmcnt(0)
	global_atomic_cmpswap_x2 v[2:3], v54, v[2:5], s[12:13] offset:24 glc
	s_waitcnt vmcnt(0)
	v_cmp_eq_u64_e32 vcc, v[2:3], v[4:5]
	v_mov_b32_e32 v5, v3
	s_or_b64 s[14:15], vcc, s[14:15]
	v_mov_b32_e32 v4, v2
	s_andn2_b64 exec, exec, s[14:15]
	s_cbranch_execnz .LBB3_1277
.LBB3_1278:                             ;   in Loop: Header=BB3_3 Depth=1
	s_or_b64 exec, exec, s[16:17]
	v_readfirstlane_b32 s4, v47
	v_mov_b32_e32 v2, 0
	v_mov_b32_e32 v3, 0
	v_cmp_eq_u32_e64 s[4:5], s4, v47
	s_and_saveexec_b64 s[14:15], s[4:5]
	s_cbranch_execz .LBB3_1284
; %bb.1279:                             ;   in Loop: Header=BB3_3 Depth=1
	global_load_dwordx2 v[4:5], v54, s[12:13] offset:24 glc
	s_waitcnt vmcnt(0)
	buffer_wbinvl1_vol
	global_load_dwordx2 v[2:3], v54, s[12:13] offset:40
	global_load_dwordx2 v[6:7], v54, s[12:13]
	s_waitcnt vmcnt(1)
	v_and_b32_e32 v2, v2, v4
	v_and_b32_e32 v3, v3, v5
	v_mul_lo_u32 v3, v3, 24
	v_mul_hi_u32 v8, v2, 24
	v_mul_lo_u32 v2, v2, 24
	v_add_u32_e32 v3, v8, v3
	s_waitcnt vmcnt(0)
	v_add_co_u32_e32 v2, vcc, v6, v2
	v_addc_co_u32_e32 v3, vcc, v7, v3, vcc
	global_load_dwordx2 v[2:3], v[2:3], off glc
	s_waitcnt vmcnt(0)
	global_atomic_cmpswap_x2 v[2:3], v54, v[2:5], s[12:13] offset:24 glc
	s_waitcnt vmcnt(0)
	buffer_wbinvl1_vol
	v_cmp_ne_u64_e32 vcc, v[2:3], v[4:5]
	s_and_saveexec_b64 s[16:17], vcc
	s_cbranch_execz .LBB3_1283
; %bb.1280:                             ;   in Loop: Header=BB3_3 Depth=1
	s_mov_b64 s[18:19], 0
.LBB3_1281:                             ;   Parent Loop BB3_3 Depth=1
                                        ; =>  This Inner Loop Header: Depth=2
	s_sleep 1
	global_load_dwordx2 v[6:7], v54, s[12:13] offset:40
	global_load_dwordx2 v[8:9], v54, s[12:13]
	v_mov_b32_e32 v5, v3
	v_mov_b32_e32 v4, v2
	s_waitcnt vmcnt(1)
	v_and_b32_e32 v2, v6, v4
	s_waitcnt vmcnt(0)
	v_mad_u64_u32 v[2:3], s[20:21], v2, 24, v[8:9]
	v_and_b32_e32 v6, v7, v5
	v_mad_u64_u32 v[6:7], s[20:21], v6, 24, v[3:4]
	v_mov_b32_e32 v3, v6
	global_load_dwordx2 v[2:3], v[2:3], off glc
	s_waitcnt vmcnt(0)
	global_atomic_cmpswap_x2 v[2:3], v54, v[2:5], s[12:13] offset:24 glc
	s_waitcnt vmcnt(0)
	buffer_wbinvl1_vol
	v_cmp_eq_u64_e32 vcc, v[2:3], v[4:5]
	s_or_b64 s[18:19], vcc, s[18:19]
	s_andn2_b64 exec, exec, s[18:19]
	s_cbranch_execnz .LBB3_1281
; %bb.1282:                             ;   in Loop: Header=BB3_3 Depth=1
	s_or_b64 exec, exec, s[18:19]
.LBB3_1283:                             ;   in Loop: Header=BB3_3 Depth=1
	s_or_b64 exec, exec, s[16:17]
.LBB3_1284:                             ;   in Loop: Header=BB3_3 Depth=1
	s_or_b64 exec, exec, s[14:15]
	global_load_dwordx2 v[8:9], v54, s[12:13] offset:40
	global_load_dwordx4 v[4:7], v54, s[12:13]
	v_readfirstlane_b32 s15, v3
	v_readfirstlane_b32 s14, v2
	s_mov_b64 s[16:17], exec
	s_waitcnt vmcnt(1)
	v_readfirstlane_b32 s18, v8
	v_readfirstlane_b32 s19, v9
	s_and_b64 s[18:19], s[18:19], s[14:15]
	s_mul_i32 s20, s19, 24
	s_mul_hi_u32 s21, s18, 24
	s_mul_i32 s22, s18, 24
	s_add_i32 s20, s21, s20
	v_mov_b32_e32 v2, s20
	s_waitcnt vmcnt(0)
	v_add_co_u32_e32 v8, vcc, s22, v4
	v_addc_co_u32_e32 v9, vcc, v5, v2, vcc
	s_and_saveexec_b64 s[20:21], s[4:5]
	s_cbranch_execz .LBB3_1286
; %bb.1285:                             ;   in Loop: Header=BB3_3 Depth=1
	v_mov_b32_e32 v38, s17
	v_mov_b32_e32 v37, s16
	global_store_dwordx4 v[8:9], v[37:40], off offset:8
.LBB3_1286:                             ;   in Loop: Header=BB3_3 Depth=1
	s_or_b64 exec, exec, s[20:21]
	v_mul_lo_u32 v10, v27, v25
	s_lshl_b64 s[16:17], s[18:19], 12
	v_mov_b32_e32 v2, s17
	v_add_co_u32_e32 v6, vcc, s16, v6
	v_addc_co_u32_e32 v7, vcc, v7, v2, vcc
	v_and_or_b32 v0, v0, s48, 32
	v_mov_b32_e32 v2, v10
	v_mov_b32_e32 v3, v54
	v_readfirstlane_b32 s16, v6
	v_readfirstlane_b32 s17, v7
	s_mov_b32 s41, s40
	s_mov_b32 s42, s40
	;; [unrolled: 1-line block ×3, first 2 shown]
	s_nop 1
	global_store_dwordx4 v26, v[0:3], s[16:17]
	s_nop 0
	v_mov_b32_e32 v0, s40
	v_mov_b32_e32 v1, s41
	v_mov_b32_e32 v2, s42
	v_mov_b32_e32 v3, s43
	global_store_dwordx4 v26, v[0:3], s[16:17] offset:16
	global_store_dwordx4 v26, v[0:3], s[16:17] offset:32
	;; [unrolled: 1-line block ×3, first 2 shown]
	s_and_saveexec_b64 s[16:17], s[4:5]
	s_cbranch_execz .LBB3_1294
; %bb.1287:                             ;   in Loop: Header=BB3_3 Depth=1
	global_load_dwordx2 v[13:14], v54, s[12:13] offset:32 glc
	global_load_dwordx2 v[0:1], v54, s[12:13] offset:40
	v_mov_b32_e32 v11, s14
	v_mov_b32_e32 v12, s15
	s_waitcnt vmcnt(0)
	v_readfirstlane_b32 s18, v0
	v_readfirstlane_b32 s19, v1
	s_and_b64 s[18:19], s[18:19], s[14:15]
	s_mul_i32 s19, s19, 24
	s_mul_hi_u32 s20, s18, 24
	s_mul_i32 s18, s18, 24
	s_add_i32 s19, s20, s19
	v_mov_b32_e32 v0, s19
	v_add_co_u32_e32 v4, vcc, s18, v4
	v_addc_co_u32_e32 v5, vcc, v5, v0, vcc
	global_store_dwordx2 v[4:5], v[13:14], off
	s_waitcnt vmcnt(0)
	global_atomic_cmpswap_x2 v[2:3], v54, v[11:14], s[12:13] offset:32 glc
	s_waitcnt vmcnt(0)
	v_cmp_ne_u64_e32 vcc, v[2:3], v[13:14]
	s_and_saveexec_b64 s[18:19], vcc
	s_cbranch_execz .LBB3_1290
; %bb.1288:                             ;   in Loop: Header=BB3_3 Depth=1
	s_mov_b64 s[20:21], 0
.LBB3_1289:                             ;   Parent Loop BB3_3 Depth=1
                                        ; =>  This Inner Loop Header: Depth=2
	s_sleep 1
	global_store_dwordx2 v[4:5], v[2:3], off
	v_mov_b32_e32 v0, s14
	v_mov_b32_e32 v1, s15
	s_waitcnt vmcnt(0)
	global_atomic_cmpswap_x2 v[0:1], v54, v[0:3], s[12:13] offset:32 glc
	s_waitcnt vmcnt(0)
	v_cmp_eq_u64_e32 vcc, v[0:1], v[2:3]
	v_mov_b32_e32 v3, v1
	s_or_b64 s[20:21], vcc, s[20:21]
	v_mov_b32_e32 v2, v0
	s_andn2_b64 exec, exec, s[20:21]
	s_cbranch_execnz .LBB3_1289
.LBB3_1290:                             ;   in Loop: Header=BB3_3 Depth=1
	s_or_b64 exec, exec, s[18:19]
	global_load_dwordx2 v[0:1], v54, s[12:13] offset:16
	s_mov_b64 s[20:21], exec
	v_mbcnt_lo_u32_b32 v2, s20, 0
	v_mbcnt_hi_u32_b32 v2, s21, v2
	v_cmp_eq_u32_e32 vcc, 0, v2
	s_and_saveexec_b64 s[18:19], vcc
	s_cbranch_execz .LBB3_1292
; %bb.1291:                             ;   in Loop: Header=BB3_3 Depth=1
	s_bcnt1_i32_b64 s20, s[20:21]
	v_mov_b32_e32 v2, s20
	v_mov_b32_e32 v3, v54
	s_waitcnt vmcnt(0)
	global_atomic_add_x2 v[0:1], v[2:3], off offset:8
.LBB3_1292:                             ;   in Loop: Header=BB3_3 Depth=1
	s_or_b64 exec, exec, s[18:19]
	s_waitcnt vmcnt(0)
	global_load_dwordx2 v[2:3], v[0:1], off offset:16
	s_waitcnt vmcnt(0)
	v_cmp_eq_u64_e32 vcc, 0, v[2:3]
	s_cbranch_vccnz .LBB3_1294
; %bb.1293:                             ;   in Loop: Header=BB3_3 Depth=1
	global_load_dword v0, v[0:1], off offset:24
	v_mov_b32_e32 v1, v54
	s_waitcnt vmcnt(0)
	v_readfirstlane_b32 s18, v0
	s_and_b32 m0, s18, 0xffffff
	global_store_dwordx2 v[2:3], v[0:1], off
	s_sendmsg sendmsg(MSG_INTERRUPT)
.LBB3_1294:                             ;   in Loop: Header=BB3_3 Depth=1
	s_or_b64 exec, exec, s[16:17]
	v_add_co_u32_e32 v0, vcc, v6, v26
	v_addc_co_u32_e32 v1, vcc, 0, v7, vcc
	s_branch .LBB3_1298
.LBB3_1295:                             ;   in Loop: Header=BB3_1298 Depth=2
	s_or_b64 exec, exec, s[16:17]
	v_readfirstlane_b32 s16, v2
	s_cmp_eq_u32 s16, 0
	s_cbranch_scc1 .LBB3_1297
; %bb.1296:                             ;   in Loop: Header=BB3_1298 Depth=2
	s_sleep 1
	s_cbranch_execnz .LBB3_1298
	s_branch .LBB3_1300
.LBB3_1297:                             ;   in Loop: Header=BB3_3 Depth=1
	s_branch .LBB3_1300
.LBB3_1298:                             ;   Parent Loop BB3_3 Depth=1
                                        ; =>  This Inner Loop Header: Depth=2
	v_mov_b32_e32 v2, 1
	s_and_saveexec_b64 s[16:17], s[4:5]
	s_cbranch_execz .LBB3_1295
; %bb.1299:                             ;   in Loop: Header=BB3_1298 Depth=2
	global_load_dword v2, v[8:9], off offset:20 glc
	s_waitcnt vmcnt(0)
	buffer_wbinvl1_vol
	v_and_b32_e32 v2, 1, v2
	s_branch .LBB3_1295
.LBB3_1300:                             ;   in Loop: Header=BB3_3 Depth=1
	global_load_dwordx2 v[0:1], v[0:1], off
	s_and_saveexec_b64 s[16:17], s[4:5]
	s_cbranch_execz .LBB3_1304
; %bb.1301:                             ;   in Loop: Header=BB3_3 Depth=1
	global_load_dwordx2 v[2:3], v54, s[12:13] offset:40
	global_load_dwordx2 v[13:14], v54, s[12:13] offset:24 glc
	global_load_dwordx2 v[4:5], v54, s[12:13]
	s_waitcnt vmcnt(2)
	v_readfirstlane_b32 s18, v2
	v_readfirstlane_b32 s19, v3
	s_add_u32 s20, s18, 1
	s_addc_u32 s21, s19, 0
	s_add_u32 s4, s20, s14
	s_addc_u32 s5, s21, s15
	s_cmp_eq_u64 s[4:5], 0
	s_cselect_b32 s5, s21, s5
	s_cselect_b32 s4, s20, s4
	s_and_b64 s[14:15], s[4:5], s[18:19]
	s_mul_i32 s15, s15, 24
	s_mul_hi_u32 s18, s14, 24
	s_mul_i32 s14, s14, 24
	s_add_i32 s15, s18, s15
	v_mov_b32_e32 v2, s15
	s_waitcnt vmcnt(0)
	v_add_co_u32_e32 v6, vcc, s14, v4
	v_addc_co_u32_e32 v7, vcc, v5, v2, vcc
	v_mov_b32_e32 v11, s4
	global_store_dwordx2 v[6:7], v[13:14], off
	v_mov_b32_e32 v12, s5
	s_waitcnt vmcnt(0)
	global_atomic_cmpswap_x2 v[4:5], v54, v[11:14], s[12:13] offset:24 glc
	s_waitcnt vmcnt(0)
	v_cmp_ne_u64_e32 vcc, v[4:5], v[13:14]
	s_and_b64 exec, exec, vcc
	s_cbranch_execz .LBB3_1304
; %bb.1302:                             ;   in Loop: Header=BB3_3 Depth=1
	s_mov_b64 s[14:15], 0
.LBB3_1303:                             ;   Parent Loop BB3_3 Depth=1
                                        ; =>  This Inner Loop Header: Depth=2
	s_sleep 1
	global_store_dwordx2 v[6:7], v[4:5], off
	v_mov_b32_e32 v2, s4
	v_mov_b32_e32 v3, s5
	s_waitcnt vmcnt(0)
	global_atomic_cmpswap_x2 v[2:3], v54, v[2:5], s[12:13] offset:24 glc
	s_waitcnt vmcnt(0)
	v_cmp_eq_u64_e32 vcc, v[2:3], v[4:5]
	v_mov_b32_e32 v5, v3
	s_or_b64 s[14:15], vcc, s[14:15]
	v_mov_b32_e32 v4, v2
	s_andn2_b64 exec, exec, s[14:15]
	s_cbranch_execnz .LBB3_1303
.LBB3_1304:                             ;   in Loop: Header=BB3_3 Depth=1
	s_or_b64 exec, exec, s[16:17]
	v_readfirstlane_b32 s4, v47
	v_mov_b32_e32 v2, 0
	v_mov_b32_e32 v3, 0
	v_cmp_eq_u32_e64 s[4:5], s4, v47
	s_and_saveexec_b64 s[14:15], s[4:5]
	s_cbranch_execz .LBB3_1310
; %bb.1305:                             ;   in Loop: Header=BB3_3 Depth=1
	global_load_dwordx2 v[4:5], v54, s[12:13] offset:24 glc
	s_waitcnt vmcnt(0)
	buffer_wbinvl1_vol
	global_load_dwordx2 v[2:3], v54, s[12:13] offset:40
	global_load_dwordx2 v[6:7], v54, s[12:13]
	s_waitcnt vmcnt(1)
	v_and_b32_e32 v2, v2, v4
	v_and_b32_e32 v3, v3, v5
	v_mul_lo_u32 v3, v3, 24
	v_mul_hi_u32 v8, v2, 24
	v_mul_lo_u32 v2, v2, 24
	v_add_u32_e32 v3, v8, v3
	s_waitcnt vmcnt(0)
	v_add_co_u32_e32 v2, vcc, v6, v2
	v_addc_co_u32_e32 v3, vcc, v7, v3, vcc
	global_load_dwordx2 v[2:3], v[2:3], off glc
	s_waitcnt vmcnt(0)
	global_atomic_cmpswap_x2 v[2:3], v54, v[2:5], s[12:13] offset:24 glc
	s_waitcnt vmcnt(0)
	buffer_wbinvl1_vol
	v_cmp_ne_u64_e32 vcc, v[2:3], v[4:5]
	s_and_saveexec_b64 s[16:17], vcc
	s_cbranch_execz .LBB3_1309
; %bb.1306:                             ;   in Loop: Header=BB3_3 Depth=1
	s_mov_b64 s[18:19], 0
.LBB3_1307:                             ;   Parent Loop BB3_3 Depth=1
                                        ; =>  This Inner Loop Header: Depth=2
	s_sleep 1
	global_load_dwordx2 v[6:7], v54, s[12:13] offset:40
	global_load_dwordx2 v[8:9], v54, s[12:13]
	v_mov_b32_e32 v5, v3
	v_mov_b32_e32 v4, v2
	s_waitcnt vmcnt(1)
	v_and_b32_e32 v2, v6, v4
	s_waitcnt vmcnt(0)
	v_mad_u64_u32 v[2:3], s[20:21], v2, 24, v[8:9]
	v_and_b32_e32 v6, v7, v5
	v_mad_u64_u32 v[6:7], s[20:21], v6, 24, v[3:4]
	v_mov_b32_e32 v3, v6
	global_load_dwordx2 v[2:3], v[2:3], off glc
	s_waitcnt vmcnt(0)
	global_atomic_cmpswap_x2 v[2:3], v54, v[2:5], s[12:13] offset:24 glc
	s_waitcnt vmcnt(0)
	buffer_wbinvl1_vol
	v_cmp_eq_u64_e32 vcc, v[2:3], v[4:5]
	s_or_b64 s[18:19], vcc, s[18:19]
	s_andn2_b64 exec, exec, s[18:19]
	s_cbranch_execnz .LBB3_1307
; %bb.1308:                             ;   in Loop: Header=BB3_3 Depth=1
	s_or_b64 exec, exec, s[18:19]
.LBB3_1309:                             ;   in Loop: Header=BB3_3 Depth=1
	s_or_b64 exec, exec, s[16:17]
.LBB3_1310:                             ;   in Loop: Header=BB3_3 Depth=1
	s_or_b64 exec, exec, s[14:15]
	global_load_dwordx2 v[8:9], v54, s[12:13] offset:40
	global_load_dwordx4 v[4:7], v54, s[12:13]
	v_readfirstlane_b32 s15, v3
	v_readfirstlane_b32 s14, v2
	s_mov_b64 s[16:17], exec
	s_waitcnt vmcnt(1)
	v_readfirstlane_b32 s18, v8
	v_readfirstlane_b32 s19, v9
	s_and_b64 s[18:19], s[18:19], s[14:15]
	s_mul_i32 s20, s19, 24
	s_mul_hi_u32 s21, s18, 24
	s_mul_i32 s22, s18, 24
	s_add_i32 s20, s21, s20
	v_mov_b32_e32 v2, s20
	s_waitcnt vmcnt(0)
	v_add_co_u32_e32 v8, vcc, s22, v4
	v_addc_co_u32_e32 v9, vcc, v5, v2, vcc
	s_and_saveexec_b64 s[20:21], s[4:5]
	s_cbranch_execz .LBB3_1312
; %bb.1311:                             ;   in Loop: Header=BB3_3 Depth=1
	v_mov_b32_e32 v38, s17
	v_mov_b32_e32 v37, s16
	global_store_dwordx4 v[8:9], v[37:40], off offset:8
.LBB3_1312:                             ;   in Loop: Header=BB3_3 Depth=1
	s_or_b64 exec, exec, s[20:21]
	s_lshl_b64 s[16:17], s[18:19], 12
	v_mov_b32_e32 v2, s17
	v_add_co_u32_e32 v6, vcc, s16, v6
	v_addc_co_u32_e32 v7, vcc, v7, v2, vcc
	v_and_or_b32 v0, v0, s49, 34
	v_mov_b32_e32 v2, v10
	v_mov_b32_e32 v3, v54
	v_readfirstlane_b32 s16, v6
	v_readfirstlane_b32 s17, v7
	s_mov_b32 s41, s40
	s_mov_b32 s42, s40
	;; [unrolled: 1-line block ×3, first 2 shown]
	s_nop 1
	global_store_dwordx4 v26, v[0:3], s[16:17]
	s_nop 0
	v_mov_b32_e32 v0, s40
	v_mov_b32_e32 v1, s41
	;; [unrolled: 1-line block ×4, first 2 shown]
	global_store_dwordx4 v26, v[0:3], s[16:17] offset:16
	global_store_dwordx4 v26, v[0:3], s[16:17] offset:32
	;; [unrolled: 1-line block ×3, first 2 shown]
	s_and_saveexec_b64 s[16:17], s[4:5]
	s_cbranch_execz .LBB3_1320
; %bb.1313:                             ;   in Loop: Header=BB3_3 Depth=1
	global_load_dwordx2 v[12:13], v54, s[12:13] offset:32 glc
	global_load_dwordx2 v[0:1], v54, s[12:13] offset:40
	v_mov_b32_e32 v10, s14
	v_mov_b32_e32 v11, s15
	s_waitcnt vmcnt(0)
	v_readfirstlane_b32 s18, v0
	v_readfirstlane_b32 s19, v1
	s_and_b64 s[18:19], s[18:19], s[14:15]
	s_mul_i32 s19, s19, 24
	s_mul_hi_u32 s20, s18, 24
	s_mul_i32 s18, s18, 24
	s_add_i32 s19, s20, s19
	v_mov_b32_e32 v0, s19
	v_add_co_u32_e32 v4, vcc, s18, v4
	v_addc_co_u32_e32 v5, vcc, v5, v0, vcc
	global_store_dwordx2 v[4:5], v[12:13], off
	s_waitcnt vmcnt(0)
	global_atomic_cmpswap_x2 v[2:3], v54, v[10:13], s[12:13] offset:32 glc
	s_waitcnt vmcnt(0)
	v_cmp_ne_u64_e32 vcc, v[2:3], v[12:13]
	s_and_saveexec_b64 s[18:19], vcc
	s_cbranch_execz .LBB3_1316
; %bb.1314:                             ;   in Loop: Header=BB3_3 Depth=1
	s_mov_b64 s[20:21], 0
.LBB3_1315:                             ;   Parent Loop BB3_3 Depth=1
                                        ; =>  This Inner Loop Header: Depth=2
	s_sleep 1
	global_store_dwordx2 v[4:5], v[2:3], off
	v_mov_b32_e32 v0, s14
	v_mov_b32_e32 v1, s15
	s_waitcnt vmcnt(0)
	global_atomic_cmpswap_x2 v[0:1], v54, v[0:3], s[12:13] offset:32 glc
	s_waitcnt vmcnt(0)
	v_cmp_eq_u64_e32 vcc, v[0:1], v[2:3]
	v_mov_b32_e32 v3, v1
	s_or_b64 s[20:21], vcc, s[20:21]
	v_mov_b32_e32 v2, v0
	s_andn2_b64 exec, exec, s[20:21]
	s_cbranch_execnz .LBB3_1315
.LBB3_1316:                             ;   in Loop: Header=BB3_3 Depth=1
	s_or_b64 exec, exec, s[18:19]
	global_load_dwordx2 v[0:1], v54, s[12:13] offset:16
	s_mov_b64 s[20:21], exec
	v_mbcnt_lo_u32_b32 v2, s20, 0
	v_mbcnt_hi_u32_b32 v2, s21, v2
	v_cmp_eq_u32_e32 vcc, 0, v2
	s_and_saveexec_b64 s[18:19], vcc
	s_cbranch_execz .LBB3_1318
; %bb.1317:                             ;   in Loop: Header=BB3_3 Depth=1
	s_bcnt1_i32_b64 s20, s[20:21]
	v_mov_b32_e32 v53, s20
	s_waitcnt vmcnt(0)
	global_atomic_add_x2 v[0:1], v[53:54], off offset:8
.LBB3_1318:                             ;   in Loop: Header=BB3_3 Depth=1
	s_or_b64 exec, exec, s[18:19]
	s_waitcnt vmcnt(0)
	global_load_dwordx2 v[2:3], v[0:1], off offset:16
	s_waitcnt vmcnt(0)
	v_cmp_eq_u64_e32 vcc, 0, v[2:3]
	s_cbranch_vccnz .LBB3_1320
; %bb.1319:                             ;   in Loop: Header=BB3_3 Depth=1
	global_load_dword v53, v[0:1], off offset:24
	s_waitcnt vmcnt(0)
	v_readfirstlane_b32 s18, v53
	s_and_b32 m0, s18, 0xffffff
	global_store_dwordx2 v[2:3], v[53:54], off
	s_sendmsg sendmsg(MSG_INTERRUPT)
.LBB3_1320:                             ;   in Loop: Header=BB3_3 Depth=1
	s_or_b64 exec, exec, s[16:17]
	v_add_co_u32_e32 v0, vcc, v6, v26
	v_addc_co_u32_e32 v1, vcc, 0, v7, vcc
	s_branch .LBB3_1324
.LBB3_1321:                             ;   in Loop: Header=BB3_1324 Depth=2
	s_or_b64 exec, exec, s[16:17]
	v_readfirstlane_b32 s16, v2
	s_cmp_eq_u32 s16, 0
	s_cbranch_scc1 .LBB3_1323
; %bb.1322:                             ;   in Loop: Header=BB3_1324 Depth=2
	s_sleep 1
	s_cbranch_execnz .LBB3_1324
	s_branch .LBB3_1326
.LBB3_1323:                             ;   in Loop: Header=BB3_3 Depth=1
	s_branch .LBB3_1326
.LBB3_1324:                             ;   Parent Loop BB3_3 Depth=1
                                        ; =>  This Inner Loop Header: Depth=2
	v_mov_b32_e32 v2, 1
	s_and_saveexec_b64 s[16:17], s[4:5]
	s_cbranch_execz .LBB3_1321
; %bb.1325:                             ;   in Loop: Header=BB3_1324 Depth=2
	global_load_dword v2, v[8:9], off offset:20 glc
	s_waitcnt vmcnt(0)
	buffer_wbinvl1_vol
	v_and_b32_e32 v2, 1, v2
	s_branch .LBB3_1321
.LBB3_1326:                             ;   in Loop: Header=BB3_3 Depth=1
	global_load_dwordx2 v[0:1], v[0:1], off
	s_and_saveexec_b64 s[16:17], s[4:5]
	s_cbranch_execz .LBB3_1330
; %bb.1327:                             ;   in Loop: Header=BB3_3 Depth=1
	global_load_dwordx2 v[1:2], v54, s[12:13] offset:40
	global_load_dwordx2 v[9:10], v54, s[12:13] offset:24 glc
	global_load_dwordx2 v[3:4], v54, s[12:13]
	s_waitcnt vmcnt(2)
	v_readfirstlane_b32 s18, v1
	v_readfirstlane_b32 s19, v2
	s_add_u32 s20, s18, 1
	s_addc_u32 s21, s19, 0
	s_add_u32 s4, s20, s14
	s_addc_u32 s5, s21, s15
	s_cmp_eq_u64 s[4:5], 0
	s_cselect_b32 s5, s21, s5
	s_cselect_b32 s4, s20, s4
	s_and_b64 s[14:15], s[4:5], s[18:19]
	s_mul_i32 s15, s15, 24
	s_mul_hi_u32 s18, s14, 24
	s_mul_i32 s14, s14, 24
	s_add_i32 s15, s18, s15
	v_mov_b32_e32 v1, s15
	s_waitcnt vmcnt(0)
	v_add_co_u32_e32 v5, vcc, s14, v3
	v_addc_co_u32_e32 v6, vcc, v4, v1, vcc
	v_mov_b32_e32 v7, s4
	global_store_dwordx2 v[5:6], v[9:10], off
	v_mov_b32_e32 v8, s5
	s_waitcnt vmcnt(0)
	global_atomic_cmpswap_x2 v[3:4], v54, v[7:10], s[12:13] offset:24 glc
	s_waitcnt vmcnt(0)
	v_cmp_ne_u64_e32 vcc, v[3:4], v[9:10]
	s_and_b64 exec, exec, vcc
	s_cbranch_execz .LBB3_1330
; %bb.1328:                             ;   in Loop: Header=BB3_3 Depth=1
	s_mov_b64 s[14:15], 0
.LBB3_1329:                             ;   Parent Loop BB3_3 Depth=1
                                        ; =>  This Inner Loop Header: Depth=2
	s_sleep 1
	global_store_dwordx2 v[5:6], v[3:4], off
	v_mov_b32_e32 v1, s4
	v_mov_b32_e32 v2, s5
	s_waitcnt vmcnt(0)
	global_atomic_cmpswap_x2 v[1:2], v54, v[1:4], s[12:13] offset:24 glc
	s_waitcnt vmcnt(0)
	v_cmp_eq_u64_e32 vcc, v[1:2], v[3:4]
	v_mov_b32_e32 v4, v2
	s_or_b64 s[14:15], vcc, s[14:15]
	v_mov_b32_e32 v3, v1
	s_andn2_b64 exec, exec, s[14:15]
	s_cbranch_execnz .LBB3_1329
.LBB3_1330:                             ;   in Loop: Header=BB3_3 Depth=1
	s_or_b64 exec, exec, s[16:17]
                                        ; implicit-def: $vgpr25
.LBB3_1331:                             ;   in Loop: Header=BB3_3 Depth=1
	s_andn2_saveexec_b64 s[10:11], s[10:11]
	s_cbranch_execz .LBB3_1551
; %bb.1332:                             ;   in Loop: Header=BB3_3 Depth=1
	flat_load_dword v27, v[44:45]
	s_load_dwordx2 s[12:13], s[26:27], 0x50
	v_readfirstlane_b32 s4, v47
	v_mov_b32_e32 v4, 0
	v_mov_b32_e32 v5, 0
	v_cmp_eq_u32_e64 s[4:5], s4, v47
	s_and_saveexec_b64 s[14:15], s[4:5]
	s_cbranch_execz .LBB3_1338
; %bb.1333:                             ;   in Loop: Header=BB3_3 Depth=1
	s_waitcnt lgkmcnt(0)
	global_load_dwordx2 v[2:3], v54, s[12:13] offset:24 glc
	s_waitcnt vmcnt(0)
	buffer_wbinvl1_vol
	global_load_dwordx2 v[0:1], v54, s[12:13] offset:40
	global_load_dwordx2 v[4:5], v54, s[12:13]
	s_waitcnt vmcnt(1)
	v_and_b32_e32 v0, v0, v2
	v_and_b32_e32 v1, v1, v3
	v_mul_lo_u32 v1, v1, 24
	v_mul_hi_u32 v6, v0, 24
	v_mul_lo_u32 v0, v0, 24
	v_add_u32_e32 v1, v6, v1
	s_waitcnt vmcnt(0)
	v_add_co_u32_e32 v0, vcc, v4, v0
	v_addc_co_u32_e32 v1, vcc, v5, v1, vcc
	global_load_dwordx2 v[0:1], v[0:1], off glc
	s_waitcnt vmcnt(0)
	global_atomic_cmpswap_x2 v[4:5], v54, v[0:3], s[12:13] offset:24 glc
	s_waitcnt vmcnt(0)
	buffer_wbinvl1_vol
	v_cmp_ne_u64_e32 vcc, v[4:5], v[2:3]
	s_and_saveexec_b64 s[16:17], vcc
	s_cbranch_execz .LBB3_1337
; %bb.1334:                             ;   in Loop: Header=BB3_3 Depth=1
	s_mov_b64 s[18:19], 0
.LBB3_1335:                             ;   Parent Loop BB3_3 Depth=1
                                        ; =>  This Inner Loop Header: Depth=2
	s_sleep 1
	global_load_dwordx2 v[0:1], v54, s[12:13] offset:40
	global_load_dwordx2 v[6:7], v54, s[12:13]
	v_mov_b32_e32 v2, v4
	v_mov_b32_e32 v3, v5
	s_waitcnt vmcnt(1)
	v_and_b32_e32 v0, v0, v2
	s_waitcnt vmcnt(0)
	v_mad_u64_u32 v[4:5], s[20:21], v0, 24, v[6:7]
	v_and_b32_e32 v1, v1, v3
	v_mov_b32_e32 v0, v5
	v_mad_u64_u32 v[0:1], s[20:21], v1, 24, v[0:1]
	v_mov_b32_e32 v5, v0
	global_load_dwordx2 v[0:1], v[4:5], off glc
	s_waitcnt vmcnt(0)
	global_atomic_cmpswap_x2 v[4:5], v54, v[0:3], s[12:13] offset:24 glc
	s_waitcnt vmcnt(0)
	buffer_wbinvl1_vol
	v_cmp_eq_u64_e32 vcc, v[4:5], v[2:3]
	s_or_b64 s[18:19], vcc, s[18:19]
	s_andn2_b64 exec, exec, s[18:19]
	s_cbranch_execnz .LBB3_1335
; %bb.1336:                             ;   in Loop: Header=BB3_3 Depth=1
	s_or_b64 exec, exec, s[18:19]
.LBB3_1337:                             ;   in Loop: Header=BB3_3 Depth=1
	s_or_b64 exec, exec, s[16:17]
.LBB3_1338:                             ;   in Loop: Header=BB3_3 Depth=1
	s_or_b64 exec, exec, s[14:15]
	s_waitcnt lgkmcnt(0)
	global_load_dwordx2 v[6:7], v54, s[12:13] offset:40
	global_load_dwordx4 v[0:3], v54, s[12:13]
	v_readfirstlane_b32 s15, v5
	v_readfirstlane_b32 s14, v4
	s_mov_b64 s[16:17], exec
	s_waitcnt vmcnt(0)
	v_readfirstlane_b32 s18, v6
	v_readfirstlane_b32 s19, v7
	s_and_b64 s[18:19], s[18:19], s[14:15]
	s_mul_i32 s20, s19, 24
	s_mul_hi_u32 s21, s18, 24
	s_mul_i32 s22, s18, 24
	s_add_i32 s20, s21, s20
	v_mov_b32_e32 v5, s20
	v_add_co_u32_e32 v4, vcc, s22, v0
	v_addc_co_u32_e32 v5, vcc, v1, v5, vcc
	s_and_saveexec_b64 s[20:21], s[4:5]
	s_cbranch_execz .LBB3_1340
; %bb.1339:                             ;   in Loop: Header=BB3_3 Depth=1
	v_mov_b32_e32 v38, s17
	v_mov_b32_e32 v37, s16
	global_store_dwordx4 v[4:5], v[37:40], off offset:8
.LBB3_1340:                             ;   in Loop: Header=BB3_3 Depth=1
	s_or_b64 exec, exec, s[20:21]
	s_lshl_b64 s[16:17], s[18:19], 12
	v_mov_b32_e32 v6, s17
	v_add_co_u32_e32 v8, vcc, s16, v2
	v_addc_co_u32_e32 v9, vcc, v3, v6, vcc
	s_mov_b32 s41, s40
	s_mov_b32 s42, s40
	;; [unrolled: 1-line block ×3, first 2 shown]
	v_mov_b32_e32 v10, s40
	v_lshlrev_b32_e32 v26, 6, v47
	v_mov_b32_e32 v53, v54
	v_mov_b32_e32 v55, v54
	v_readfirstlane_b32 s16, v8
	v_readfirstlane_b32 s17, v9
	v_mov_b32_e32 v11, s41
	v_mov_b32_e32 v12, s42
	;; [unrolled: 1-line block ×3, first 2 shown]
	s_nop 1
	global_store_dwordx4 v26, v[52:55], s[16:17]
	global_store_dwordx4 v26, v[10:13], s[16:17] offset:16
	global_store_dwordx4 v26, v[10:13], s[16:17] offset:32
	;; [unrolled: 1-line block ×3, first 2 shown]
	s_and_saveexec_b64 s[16:17], s[4:5]
	s_cbranch_execz .LBB3_1348
; %bb.1341:                             ;   in Loop: Header=BB3_3 Depth=1
	global_load_dwordx2 v[12:13], v54, s[12:13] offset:32 glc
	global_load_dwordx2 v[2:3], v54, s[12:13] offset:40
	v_mov_b32_e32 v10, s14
	v_mov_b32_e32 v11, s15
	s_waitcnt vmcnt(0)
	v_and_b32_e32 v2, s14, v2
	v_and_b32_e32 v3, s15, v3
	v_mul_lo_u32 v3, v3, 24
	v_mul_hi_u32 v6, v2, 24
	v_mul_lo_u32 v2, v2, 24
	v_add_u32_e32 v3, v6, v3
	v_add_co_u32_e32 v6, vcc, v0, v2
	v_addc_co_u32_e32 v7, vcc, v1, v3, vcc
	global_store_dwordx2 v[6:7], v[12:13], off
	s_waitcnt vmcnt(0)
	global_atomic_cmpswap_x2 v[2:3], v54, v[10:13], s[12:13] offset:32 glc
	s_waitcnt vmcnt(0)
	v_cmp_ne_u64_e32 vcc, v[2:3], v[12:13]
	s_and_saveexec_b64 s[18:19], vcc
	s_cbranch_execz .LBB3_1344
; %bb.1342:                             ;   in Loop: Header=BB3_3 Depth=1
	s_mov_b64 s[20:21], 0
.LBB3_1343:                             ;   Parent Loop BB3_3 Depth=1
                                        ; =>  This Inner Loop Header: Depth=2
	s_sleep 1
	global_store_dwordx2 v[6:7], v[2:3], off
	v_mov_b32_e32 v0, s14
	v_mov_b32_e32 v1, s15
	s_waitcnt vmcnt(0)
	global_atomic_cmpswap_x2 v[0:1], v54, v[0:3], s[12:13] offset:32 glc
	s_waitcnt vmcnt(0)
	v_cmp_eq_u64_e32 vcc, v[0:1], v[2:3]
	v_mov_b32_e32 v3, v1
	s_or_b64 s[20:21], vcc, s[20:21]
	v_mov_b32_e32 v2, v0
	s_andn2_b64 exec, exec, s[20:21]
	s_cbranch_execnz .LBB3_1343
.LBB3_1344:                             ;   in Loop: Header=BB3_3 Depth=1
	s_or_b64 exec, exec, s[18:19]
	global_load_dwordx2 v[0:1], v54, s[12:13] offset:16
	s_mov_b64 s[20:21], exec
	v_mbcnt_lo_u32_b32 v2, s20, 0
	v_mbcnt_hi_u32_b32 v2, s21, v2
	v_cmp_eq_u32_e32 vcc, 0, v2
	s_and_saveexec_b64 s[18:19], vcc
	s_cbranch_execz .LBB3_1346
; %bb.1345:                             ;   in Loop: Header=BB3_3 Depth=1
	s_bcnt1_i32_b64 s20, s[20:21]
	v_mov_b32_e32 v53, s20
	s_waitcnt vmcnt(0)
	global_atomic_add_x2 v[0:1], v[53:54], off offset:8
.LBB3_1346:                             ;   in Loop: Header=BB3_3 Depth=1
	s_or_b64 exec, exec, s[18:19]
	s_waitcnt vmcnt(0)
	global_load_dwordx2 v[2:3], v[0:1], off offset:16
	s_waitcnt vmcnt(0)
	v_cmp_eq_u64_e32 vcc, 0, v[2:3]
	s_cbranch_vccnz .LBB3_1348
; %bb.1347:                             ;   in Loop: Header=BB3_3 Depth=1
	global_load_dword v53, v[0:1], off offset:24
	s_waitcnt vmcnt(0)
	v_readfirstlane_b32 s18, v53
	s_and_b32 m0, s18, 0xffffff
	global_store_dwordx2 v[2:3], v[53:54], off
	s_sendmsg sendmsg(MSG_INTERRUPT)
.LBB3_1348:                             ;   in Loop: Header=BB3_3 Depth=1
	s_or_b64 exec, exec, s[16:17]
	v_add_co_u32_e32 v0, vcc, v8, v26
	v_addc_co_u32_e32 v1, vcc, 0, v9, vcc
	s_branch .LBB3_1352
.LBB3_1349:                             ;   in Loop: Header=BB3_1352 Depth=2
	s_or_b64 exec, exec, s[16:17]
	v_readfirstlane_b32 s16, v2
	s_cmp_eq_u32 s16, 0
	s_cbranch_scc1 .LBB3_1351
; %bb.1350:                             ;   in Loop: Header=BB3_1352 Depth=2
	s_sleep 1
	s_cbranch_execnz .LBB3_1352
	s_branch .LBB3_1354
.LBB3_1351:                             ;   in Loop: Header=BB3_3 Depth=1
	s_branch .LBB3_1354
.LBB3_1352:                             ;   Parent Loop BB3_3 Depth=1
                                        ; =>  This Inner Loop Header: Depth=2
	v_mov_b32_e32 v2, 1
	s_and_saveexec_b64 s[16:17], s[4:5]
	s_cbranch_execz .LBB3_1349
; %bb.1353:                             ;   in Loop: Header=BB3_1352 Depth=2
	global_load_dword v2, v[4:5], off offset:20 glc
	s_waitcnt vmcnt(0)
	buffer_wbinvl1_vol
	v_and_b32_e32 v2, 1, v2
	s_branch .LBB3_1349
.LBB3_1354:                             ;   in Loop: Header=BB3_3 Depth=1
	global_load_dwordx2 v[0:1], v[0:1], off
	s_and_saveexec_b64 s[16:17], s[4:5]
	s_cbranch_execz .LBB3_1358
; %bb.1355:                             ;   in Loop: Header=BB3_3 Depth=1
	global_load_dwordx2 v[2:3], v54, s[12:13] offset:40
	global_load_dwordx2 v[10:11], v54, s[12:13] offset:24 glc
	global_load_dwordx2 v[4:5], v54, s[12:13]
	s_waitcnt vmcnt(2)
	v_readfirstlane_b32 s18, v2
	v_readfirstlane_b32 s19, v3
	s_add_u32 s20, s18, 1
	s_addc_u32 s21, s19, 0
	s_add_u32 s4, s20, s14
	s_addc_u32 s5, s21, s15
	s_cmp_eq_u64 s[4:5], 0
	s_cselect_b32 s5, s21, s5
	s_cselect_b32 s4, s20, s4
	s_and_b64 s[14:15], s[4:5], s[18:19]
	s_mul_i32 s15, s15, 24
	s_mul_hi_u32 s18, s14, 24
	s_mul_i32 s14, s14, 24
	s_add_i32 s15, s18, s15
	v_mov_b32_e32 v2, s15
	s_waitcnt vmcnt(0)
	v_add_co_u32_e32 v6, vcc, s14, v4
	v_addc_co_u32_e32 v7, vcc, v5, v2, vcc
	v_mov_b32_e32 v8, s4
	global_store_dwordx2 v[6:7], v[10:11], off
	v_mov_b32_e32 v9, s5
	s_waitcnt vmcnt(0)
	global_atomic_cmpswap_x2 v[4:5], v54, v[8:11], s[12:13] offset:24 glc
	s_waitcnt vmcnt(0)
	v_cmp_ne_u64_e32 vcc, v[4:5], v[10:11]
	s_and_b64 exec, exec, vcc
	s_cbranch_execz .LBB3_1358
; %bb.1356:                             ;   in Loop: Header=BB3_3 Depth=1
	s_mov_b64 s[14:15], 0
.LBB3_1357:                             ;   Parent Loop BB3_3 Depth=1
                                        ; =>  This Inner Loop Header: Depth=2
	s_sleep 1
	global_store_dwordx2 v[6:7], v[4:5], off
	v_mov_b32_e32 v2, s4
	v_mov_b32_e32 v3, s5
	s_waitcnt vmcnt(0)
	global_atomic_cmpswap_x2 v[2:3], v54, v[2:5], s[12:13] offset:24 glc
	s_waitcnt vmcnt(0)
	v_cmp_eq_u64_e32 vcc, v[2:3], v[4:5]
	v_mov_b32_e32 v5, v3
	s_or_b64 s[14:15], vcc, s[14:15]
	v_mov_b32_e32 v4, v2
	s_andn2_b64 exec, exec, s[14:15]
	s_cbranch_execnz .LBB3_1357
.LBB3_1358:                             ;   in Loop: Header=BB3_3 Depth=1
	s_or_b64 exec, exec, s[16:17]
	s_and_b64 vcc, exec, s[72:73]
	s_cbranch_vccz .LBB3_1444
; %bb.1359:                             ;   in Loop: Header=BB3_3 Depth=1
	s_waitcnt vmcnt(0)
	v_and_b32_e32 v28, 2, v0
	v_and_b32_e32 v2, -3, v0
	v_mov_b32_e32 v3, v1
	s_mov_b64 s[16:17], 35
	s_getpc_b64 s[14:15]
	s_add_u32 s14, s14, .str.1@rel32@lo+4
	s_addc_u32 s15, s15, .str.1@rel32@hi+12
	s_branch .LBB3_1361
.LBB3_1360:                             ;   in Loop: Header=BB3_1361 Depth=2
	s_or_b64 exec, exec, s[22:23]
	s_sub_u32 s16, s16, s18
	s_subb_u32 s17, s17, s19
	s_add_u32 s14, s14, s18
	s_addc_u32 s15, s15, s19
	s_cmp_lg_u64 s[16:17], 0
	s_cbranch_scc0 .LBB3_1443
.LBB3_1361:                             ;   Parent Loop BB3_3 Depth=1
                                        ; =>  This Loop Header: Depth=2
                                        ;       Child Loop BB3_1364 Depth 3
                                        ;       Child Loop BB3_1372 Depth 3
	;; [unrolled: 1-line block ×11, first 2 shown]
	v_cmp_lt_u64_e64 s[4:5], s[16:17], 56
	v_cmp_gt_u64_e64 s[20:21], s[16:17], 7
	s_and_b64 s[4:5], s[4:5], exec
	s_cselect_b32 s19, s17, 0
	s_cselect_b32 s18, s16, 56
	s_add_u32 s4, s14, 8
	s_addc_u32 s5, s15, 0
	s_and_b64 vcc, exec, s[20:21]
	s_cbranch_vccnz .LBB3_1365
; %bb.1362:                             ;   in Loop: Header=BB3_1361 Depth=2
	s_cmp_eq_u64 s[16:17], 0
	s_cbranch_scc1 .LBB3_1366
; %bb.1363:                             ;   in Loop: Header=BB3_1361 Depth=2
	v_mov_b32_e32 v4, 0
	s_lshl_b64 s[4:5], s[18:19], 3
	s_mov_b64 s[20:21], 0
	v_mov_b32_e32 v5, 0
	s_mov_b64 s[22:23], s[14:15]
.LBB3_1364:                             ;   Parent Loop BB3_3 Depth=1
                                        ;     Parent Loop BB3_1361 Depth=2
                                        ; =>    This Inner Loop Header: Depth=3
	global_load_ubyte v6, v54, s[22:23]
	s_waitcnt vmcnt(0)
	v_and_b32_e32 v53, 0xffff, v6
	v_lshlrev_b64 v[6:7], s20, v[53:54]
	s_add_u32 s20, s20, 8
	s_addc_u32 s21, s21, 0
	s_add_u32 s22, s22, 1
	s_addc_u32 s23, s23, 0
	v_or_b32_e32 v4, v6, v4
	s_cmp_lg_u32 s4, s20
	v_or_b32_e32 v5, v7, v5
	s_cbranch_scc1 .LBB3_1364
	s_branch .LBB3_1367
.LBB3_1365:                             ;   in Loop: Header=BB3_1361 Depth=2
	s_mov_b32 s24, 0
	s_branch .LBB3_1368
.LBB3_1366:                             ;   in Loop: Header=BB3_1361 Depth=2
	v_mov_b32_e32 v4, 0
	v_mov_b32_e32 v5, 0
.LBB3_1367:                             ;   in Loop: Header=BB3_1361 Depth=2
	s_mov_b64 s[4:5], s[14:15]
	s_mov_b32 s24, 0
	s_cbranch_execnz .LBB3_1369
.LBB3_1368:                             ;   in Loop: Header=BB3_1361 Depth=2
	global_load_dwordx2 v[4:5], v54, s[14:15]
	s_add_i32 s24, s18, -8
.LBB3_1369:                             ;   in Loop: Header=BB3_1361 Depth=2
	s_add_u32 s20, s4, 8
	s_addc_u32 s21, s5, 0
	s_cmp_gt_u32 s24, 7
	s_cbranch_scc1 .LBB3_1373
; %bb.1370:                             ;   in Loop: Header=BB3_1361 Depth=2
	s_cmp_eq_u32 s24, 0
	s_cbranch_scc1 .LBB3_1374
; %bb.1371:                             ;   in Loop: Header=BB3_1361 Depth=2
	v_mov_b32_e32 v6, 0
	s_mov_b64 s[20:21], 0
	v_mov_b32_e32 v7, 0
	s_mov_b64 s[22:23], 0
.LBB3_1372:                             ;   Parent Loop BB3_3 Depth=1
                                        ;     Parent Loop BB3_1361 Depth=2
                                        ; =>    This Inner Loop Header: Depth=3
	s_add_u32 s42, s4, s22
	s_addc_u32 s43, s5, s23
	global_load_ubyte v8, v54, s[42:43]
	s_add_u32 s22, s22, 1
	s_addc_u32 s23, s23, 0
	s_waitcnt vmcnt(0)
	v_and_b32_e32 v53, 0xffff, v8
	v_lshlrev_b64 v[8:9], s20, v[53:54]
	s_add_u32 s20, s20, 8
	s_addc_u32 s21, s21, 0
	v_or_b32_e32 v6, v8, v6
	s_cmp_lg_u32 s24, s22
	v_or_b32_e32 v7, v9, v7
	s_cbranch_scc1 .LBB3_1372
	s_branch .LBB3_1375
.LBB3_1373:                             ;   in Loop: Header=BB3_1361 Depth=2
                                        ; implicit-def: $vgpr6_vgpr7
	s_mov_b32 s25, 0
	s_branch .LBB3_1376
.LBB3_1374:                             ;   in Loop: Header=BB3_1361 Depth=2
	v_mov_b32_e32 v6, 0
	v_mov_b32_e32 v7, 0
.LBB3_1375:                             ;   in Loop: Header=BB3_1361 Depth=2
	s_mov_b64 s[20:21], s[4:5]
	s_mov_b32 s25, 0
	s_cbranch_execnz .LBB3_1377
.LBB3_1376:                             ;   in Loop: Header=BB3_1361 Depth=2
	global_load_dwordx2 v[6:7], v54, s[4:5]
	s_add_i32 s25, s24, -8
.LBB3_1377:                             ;   in Loop: Header=BB3_1361 Depth=2
	s_add_u32 s4, s20, 8
	s_addc_u32 s5, s21, 0
	s_cmp_gt_u32 s25, 7
	s_cbranch_scc1 .LBB3_1381
; %bb.1378:                             ;   in Loop: Header=BB3_1361 Depth=2
	s_cmp_eq_u32 s25, 0
	s_cbranch_scc1 .LBB3_1382
; %bb.1379:                             ;   in Loop: Header=BB3_1361 Depth=2
	v_mov_b32_e32 v8, 0
	s_mov_b64 s[4:5], 0
	v_mov_b32_e32 v9, 0
	s_mov_b64 s[22:23], 0
.LBB3_1380:                             ;   Parent Loop BB3_3 Depth=1
                                        ;     Parent Loop BB3_1361 Depth=2
                                        ; =>    This Inner Loop Header: Depth=3
	s_add_u32 s42, s20, s22
	s_addc_u32 s43, s21, s23
	global_load_ubyte v10, v54, s[42:43]
	s_add_u32 s22, s22, 1
	s_addc_u32 s23, s23, 0
	s_waitcnt vmcnt(0)
	v_and_b32_e32 v53, 0xffff, v10
	v_lshlrev_b64 v[10:11], s4, v[53:54]
	s_add_u32 s4, s4, 8
	s_addc_u32 s5, s5, 0
	v_or_b32_e32 v8, v10, v8
	s_cmp_lg_u32 s25, s22
	v_or_b32_e32 v9, v11, v9
	s_cbranch_scc1 .LBB3_1380
	s_branch .LBB3_1383
.LBB3_1381:                             ;   in Loop: Header=BB3_1361 Depth=2
	s_mov_b32 s24, 0
	s_branch .LBB3_1384
.LBB3_1382:                             ;   in Loop: Header=BB3_1361 Depth=2
	v_mov_b32_e32 v8, 0
	v_mov_b32_e32 v9, 0
.LBB3_1383:                             ;   in Loop: Header=BB3_1361 Depth=2
	s_mov_b64 s[4:5], s[20:21]
	s_mov_b32 s24, 0
	s_cbranch_execnz .LBB3_1385
.LBB3_1384:                             ;   in Loop: Header=BB3_1361 Depth=2
	global_load_dwordx2 v[8:9], v54, s[20:21]
	s_add_i32 s24, s25, -8
.LBB3_1385:                             ;   in Loop: Header=BB3_1361 Depth=2
	s_add_u32 s20, s4, 8
	s_addc_u32 s21, s5, 0
	s_cmp_gt_u32 s24, 7
	s_cbranch_scc1 .LBB3_1389
; %bb.1386:                             ;   in Loop: Header=BB3_1361 Depth=2
	s_cmp_eq_u32 s24, 0
	s_cbranch_scc1 .LBB3_1390
; %bb.1387:                             ;   in Loop: Header=BB3_1361 Depth=2
	v_mov_b32_e32 v10, 0
	s_mov_b64 s[20:21], 0
	v_mov_b32_e32 v11, 0
	s_mov_b64 s[22:23], 0
.LBB3_1388:                             ;   Parent Loop BB3_3 Depth=1
                                        ;     Parent Loop BB3_1361 Depth=2
                                        ; =>    This Inner Loop Header: Depth=3
	s_add_u32 s42, s4, s22
	s_addc_u32 s43, s5, s23
	global_load_ubyte v12, v54, s[42:43]
	s_add_u32 s22, s22, 1
	s_addc_u32 s23, s23, 0
	s_waitcnt vmcnt(0)
	v_and_b32_e32 v53, 0xffff, v12
	v_lshlrev_b64 v[12:13], s20, v[53:54]
	s_add_u32 s20, s20, 8
	s_addc_u32 s21, s21, 0
	v_or_b32_e32 v10, v12, v10
	s_cmp_lg_u32 s24, s22
	v_or_b32_e32 v11, v13, v11
	s_cbranch_scc1 .LBB3_1388
	s_branch .LBB3_1391
.LBB3_1389:                             ;   in Loop: Header=BB3_1361 Depth=2
                                        ; implicit-def: $vgpr10_vgpr11
	s_mov_b32 s25, 0
	s_branch .LBB3_1392
.LBB3_1390:                             ;   in Loop: Header=BB3_1361 Depth=2
	v_mov_b32_e32 v10, 0
	v_mov_b32_e32 v11, 0
.LBB3_1391:                             ;   in Loop: Header=BB3_1361 Depth=2
	s_mov_b64 s[20:21], s[4:5]
	s_mov_b32 s25, 0
	s_cbranch_execnz .LBB3_1393
.LBB3_1392:                             ;   in Loop: Header=BB3_1361 Depth=2
	global_load_dwordx2 v[10:11], v54, s[4:5]
	s_add_i32 s25, s24, -8
.LBB3_1393:                             ;   in Loop: Header=BB3_1361 Depth=2
	s_add_u32 s4, s20, 8
	s_addc_u32 s5, s21, 0
	s_cmp_gt_u32 s25, 7
	s_cbranch_scc1 .LBB3_1397
; %bb.1394:                             ;   in Loop: Header=BB3_1361 Depth=2
	s_cmp_eq_u32 s25, 0
	s_cbranch_scc1 .LBB3_1398
; %bb.1395:                             ;   in Loop: Header=BB3_1361 Depth=2
	v_mov_b32_e32 v12, 0
	s_mov_b64 s[4:5], 0
	v_mov_b32_e32 v13, 0
	s_mov_b64 s[22:23], 0
.LBB3_1396:                             ;   Parent Loop BB3_3 Depth=1
                                        ;     Parent Loop BB3_1361 Depth=2
                                        ; =>    This Inner Loop Header: Depth=3
	s_add_u32 s42, s20, s22
	s_addc_u32 s43, s21, s23
	global_load_ubyte v14, v54, s[42:43]
	s_add_u32 s22, s22, 1
	s_addc_u32 s23, s23, 0
	s_waitcnt vmcnt(0)
	v_and_b32_e32 v53, 0xffff, v14
	v_lshlrev_b64 v[14:15], s4, v[53:54]
	s_add_u32 s4, s4, 8
	s_addc_u32 s5, s5, 0
	v_or_b32_e32 v12, v14, v12
	s_cmp_lg_u32 s25, s22
	v_or_b32_e32 v13, v15, v13
	s_cbranch_scc1 .LBB3_1396
	s_branch .LBB3_1399
.LBB3_1397:                             ;   in Loop: Header=BB3_1361 Depth=2
	s_mov_b32 s24, 0
	s_branch .LBB3_1400
.LBB3_1398:                             ;   in Loop: Header=BB3_1361 Depth=2
	v_mov_b32_e32 v12, 0
	v_mov_b32_e32 v13, 0
.LBB3_1399:                             ;   in Loop: Header=BB3_1361 Depth=2
	s_mov_b64 s[4:5], s[20:21]
	s_mov_b32 s24, 0
	s_cbranch_execnz .LBB3_1401
.LBB3_1400:                             ;   in Loop: Header=BB3_1361 Depth=2
	global_load_dwordx2 v[12:13], v54, s[20:21]
	s_add_i32 s24, s25, -8
.LBB3_1401:                             ;   in Loop: Header=BB3_1361 Depth=2
	s_add_u32 s20, s4, 8
	s_addc_u32 s21, s5, 0
	s_cmp_gt_u32 s24, 7
	s_cbranch_scc1 .LBB3_1405
; %bb.1402:                             ;   in Loop: Header=BB3_1361 Depth=2
	s_cmp_eq_u32 s24, 0
	s_cbranch_scc1 .LBB3_1406
; %bb.1403:                             ;   in Loop: Header=BB3_1361 Depth=2
	v_mov_b32_e32 v14, 0
	s_mov_b64 s[20:21], 0
	v_mov_b32_e32 v15, 0
	s_mov_b64 s[22:23], 0
.LBB3_1404:                             ;   Parent Loop BB3_3 Depth=1
                                        ;     Parent Loop BB3_1361 Depth=2
                                        ; =>    This Inner Loop Header: Depth=3
	s_add_u32 s42, s4, s22
	s_addc_u32 s43, s5, s23
	global_load_ubyte v16, v54, s[42:43]
	s_add_u32 s22, s22, 1
	s_addc_u32 s23, s23, 0
	s_waitcnt vmcnt(0)
	v_and_b32_e32 v53, 0xffff, v16
	v_lshlrev_b64 v[16:17], s20, v[53:54]
	s_add_u32 s20, s20, 8
	s_addc_u32 s21, s21, 0
	v_or_b32_e32 v14, v16, v14
	s_cmp_lg_u32 s24, s22
	v_or_b32_e32 v15, v17, v15
	s_cbranch_scc1 .LBB3_1404
	s_branch .LBB3_1407
.LBB3_1405:                             ;   in Loop: Header=BB3_1361 Depth=2
                                        ; implicit-def: $vgpr14_vgpr15
	s_mov_b32 s25, 0
	s_branch .LBB3_1408
.LBB3_1406:                             ;   in Loop: Header=BB3_1361 Depth=2
	v_mov_b32_e32 v14, 0
	v_mov_b32_e32 v15, 0
.LBB3_1407:                             ;   in Loop: Header=BB3_1361 Depth=2
	s_mov_b64 s[20:21], s[4:5]
	s_mov_b32 s25, 0
	s_cbranch_execnz .LBB3_1409
.LBB3_1408:                             ;   in Loop: Header=BB3_1361 Depth=2
	global_load_dwordx2 v[14:15], v54, s[4:5]
	s_add_i32 s25, s24, -8
.LBB3_1409:                             ;   in Loop: Header=BB3_1361 Depth=2
	s_cmp_gt_u32 s25, 7
	s_cbranch_scc1 .LBB3_1413
; %bb.1410:                             ;   in Loop: Header=BB3_1361 Depth=2
	s_cmp_eq_u32 s25, 0
	s_cbranch_scc1 .LBB3_1414
; %bb.1411:                             ;   in Loop: Header=BB3_1361 Depth=2
	v_mov_b32_e32 v16, 0
	s_mov_b64 s[4:5], 0
	v_mov_b32_e32 v17, 0
	s_mov_b64 s[22:23], s[20:21]
.LBB3_1412:                             ;   Parent Loop BB3_3 Depth=1
                                        ;     Parent Loop BB3_1361 Depth=2
                                        ; =>    This Inner Loop Header: Depth=3
	global_load_ubyte v18, v54, s[22:23]
	s_add_i32 s25, s25, -1
	s_waitcnt vmcnt(0)
	v_and_b32_e32 v53, 0xffff, v18
	v_lshlrev_b64 v[18:19], s4, v[53:54]
	s_add_u32 s4, s4, 8
	s_addc_u32 s5, s5, 0
	s_add_u32 s22, s22, 1
	s_addc_u32 s23, s23, 0
	v_or_b32_e32 v16, v18, v16
	s_cmp_lg_u32 s25, 0
	v_or_b32_e32 v17, v19, v17
	s_cbranch_scc1 .LBB3_1412
	s_branch .LBB3_1415
.LBB3_1413:                             ;   in Loop: Header=BB3_1361 Depth=2
	s_branch .LBB3_1416
.LBB3_1414:                             ;   in Loop: Header=BB3_1361 Depth=2
	v_mov_b32_e32 v16, 0
	v_mov_b32_e32 v17, 0
.LBB3_1415:                             ;   in Loop: Header=BB3_1361 Depth=2
	s_cbranch_execnz .LBB3_1417
.LBB3_1416:                             ;   in Loop: Header=BB3_1361 Depth=2
	global_load_dwordx2 v[16:17], v54, s[20:21]
.LBB3_1417:                             ;   in Loop: Header=BB3_1361 Depth=2
	v_readfirstlane_b32 s4, v47
	v_mov_b32_e32 v22, 0
	v_mov_b32_e32 v23, 0
	v_cmp_eq_u32_e64 s[4:5], s4, v47
	s_and_saveexec_b64 s[20:21], s[4:5]
	s_cbranch_execz .LBB3_1423
; %bb.1418:                             ;   in Loop: Header=BB3_1361 Depth=2
	global_load_dwordx2 v[20:21], v54, s[12:13] offset:24 glc
	s_waitcnt vmcnt(0)
	buffer_wbinvl1_vol
	global_load_dwordx2 v[18:19], v54, s[12:13] offset:40
	global_load_dwordx2 v[22:23], v54, s[12:13]
	s_waitcnt vmcnt(1)
	v_and_b32_e32 v18, v18, v20
	v_and_b32_e32 v19, v19, v21
	v_mul_lo_u32 v19, v19, 24
	v_mul_hi_u32 v29, v18, 24
	v_mul_lo_u32 v18, v18, 24
	v_add_u32_e32 v19, v29, v19
	s_waitcnt vmcnt(0)
	v_add_co_u32_e32 v18, vcc, v22, v18
	v_addc_co_u32_e32 v19, vcc, v23, v19, vcc
	global_load_dwordx2 v[18:19], v[18:19], off glc
	s_waitcnt vmcnt(0)
	global_atomic_cmpswap_x2 v[22:23], v54, v[18:21], s[12:13] offset:24 glc
	s_waitcnt vmcnt(0)
	buffer_wbinvl1_vol
	v_cmp_ne_u64_e32 vcc, v[22:23], v[20:21]
	s_and_saveexec_b64 s[22:23], vcc
	s_cbranch_execz .LBB3_1422
; %bb.1419:                             ;   in Loop: Header=BB3_1361 Depth=2
	s_mov_b64 s[24:25], 0
.LBB3_1420:                             ;   Parent Loop BB3_3 Depth=1
                                        ;     Parent Loop BB3_1361 Depth=2
                                        ; =>    This Inner Loop Header: Depth=3
	s_sleep 1
	global_load_dwordx2 v[18:19], v54, s[12:13] offset:40
	global_load_dwordx2 v[29:30], v54, s[12:13]
	v_mov_b32_e32 v20, v22
	v_mov_b32_e32 v21, v23
	s_waitcnt vmcnt(1)
	v_and_b32_e32 v18, v18, v20
	s_waitcnt vmcnt(0)
	v_mad_u64_u32 v[22:23], s[42:43], v18, 24, v[29:30]
	v_and_b32_e32 v19, v19, v21
	v_mov_b32_e32 v18, v23
	v_mad_u64_u32 v[18:19], s[42:43], v19, 24, v[18:19]
	v_mov_b32_e32 v23, v18
	global_load_dwordx2 v[18:19], v[22:23], off glc
	s_waitcnt vmcnt(0)
	global_atomic_cmpswap_x2 v[22:23], v54, v[18:21], s[12:13] offset:24 glc
	s_waitcnt vmcnt(0)
	buffer_wbinvl1_vol
	v_cmp_eq_u64_e32 vcc, v[22:23], v[20:21]
	s_or_b64 s[24:25], vcc, s[24:25]
	s_andn2_b64 exec, exec, s[24:25]
	s_cbranch_execnz .LBB3_1420
; %bb.1421:                             ;   in Loop: Header=BB3_1361 Depth=2
	s_or_b64 exec, exec, s[24:25]
.LBB3_1422:                             ;   in Loop: Header=BB3_1361 Depth=2
	s_or_b64 exec, exec, s[22:23]
.LBB3_1423:                             ;   in Loop: Header=BB3_1361 Depth=2
	s_or_b64 exec, exec, s[20:21]
	global_load_dwordx2 v[29:30], v54, s[12:13] offset:40
	global_load_dwordx4 v[18:21], v54, s[12:13]
	v_readfirstlane_b32 s21, v23
	v_readfirstlane_b32 s20, v22
	s_mov_b64 s[22:23], exec
	s_waitcnt vmcnt(1)
	v_readfirstlane_b32 s24, v29
	v_readfirstlane_b32 s25, v30
	s_and_b64 s[24:25], s[24:25], s[20:21]
	s_mul_i32 s41, s25, 24
	s_mul_hi_u32 s42, s24, 24
	s_mul_i32 s43, s24, 24
	s_add_i32 s41, s42, s41
	v_mov_b32_e32 v23, s41
	s_waitcnt vmcnt(0)
	v_add_co_u32_e32 v22, vcc, s43, v18
	v_addc_co_u32_e32 v23, vcc, v19, v23, vcc
	s_and_saveexec_b64 s[42:43], s[4:5]
	s_cbranch_execz .LBB3_1425
; %bb.1424:                             ;   in Loop: Header=BB3_1361 Depth=2
	v_mov_b32_e32 v38, s23
	v_mov_b32_e32 v37, s22
	global_store_dwordx4 v[22:23], v[37:40], off offset:8
.LBB3_1425:                             ;   in Loop: Header=BB3_1361 Depth=2
	s_or_b64 exec, exec, s[42:43]
	s_lshl_b64 s[22:23], s[24:25], 12
	v_mov_b32_e32 v29, s23
	v_add_co_u32_e32 v20, vcc, s22, v20
	v_addc_co_u32_e32 v21, vcc, v21, v29, vcc
	v_cmp_lt_u64_e64 vcc, s[16:17], 57
	s_lshl_b32 s22, s18, 2
	v_cndmask_b32_e32 v29, 0, v28, vcc
	s_add_i32 s22, s22, 28
	v_and_b32_e32 v2, 0xffffff1f, v2
	s_and_b32 s22, s22, 0x1e0
	v_or_b32_e32 v2, v2, v29
	v_or_b32_e32 v2, s22, v2
	v_readfirstlane_b32 s22, v20
	v_readfirstlane_b32 s23, v21
	s_nop 4
	global_store_dwordx4 v26, v[2:5], s[22:23]
	global_store_dwordx4 v26, v[6:9], s[22:23] offset:16
	global_store_dwordx4 v26, v[10:13], s[22:23] offset:32
	;; [unrolled: 1-line block ×3, first 2 shown]
	s_and_saveexec_b64 s[22:23], s[4:5]
	s_cbranch_execz .LBB3_1433
; %bb.1426:                             ;   in Loop: Header=BB3_1361 Depth=2
	global_load_dwordx2 v[10:11], v54, s[12:13] offset:32 glc
	global_load_dwordx2 v[2:3], v54, s[12:13] offset:40
	v_mov_b32_e32 v8, s20
	v_mov_b32_e32 v9, s21
	s_waitcnt vmcnt(0)
	v_readfirstlane_b32 s24, v2
	v_readfirstlane_b32 s25, v3
	s_and_b64 s[24:25], s[24:25], s[20:21]
	s_mul_i32 s25, s25, 24
	s_mul_hi_u32 s41, s24, 24
	s_mul_i32 s24, s24, 24
	s_add_i32 s25, s41, s25
	v_mov_b32_e32 v2, s25
	v_add_co_u32_e32 v6, vcc, s24, v18
	v_addc_co_u32_e32 v7, vcc, v19, v2, vcc
	global_store_dwordx2 v[6:7], v[10:11], off
	s_waitcnt vmcnt(0)
	global_atomic_cmpswap_x2 v[4:5], v54, v[8:11], s[12:13] offset:32 glc
	s_waitcnt vmcnt(0)
	v_cmp_ne_u64_e32 vcc, v[4:5], v[10:11]
	s_and_saveexec_b64 s[24:25], vcc
	s_cbranch_execz .LBB3_1429
; %bb.1427:                             ;   in Loop: Header=BB3_1361 Depth=2
	s_mov_b64 s[42:43], 0
.LBB3_1428:                             ;   Parent Loop BB3_3 Depth=1
                                        ;     Parent Loop BB3_1361 Depth=2
                                        ; =>    This Inner Loop Header: Depth=3
	s_sleep 1
	global_store_dwordx2 v[6:7], v[4:5], off
	v_mov_b32_e32 v2, s20
	v_mov_b32_e32 v3, s21
	s_waitcnt vmcnt(0)
	global_atomic_cmpswap_x2 v[2:3], v54, v[2:5], s[12:13] offset:32 glc
	s_waitcnt vmcnt(0)
	v_cmp_eq_u64_e32 vcc, v[2:3], v[4:5]
	v_mov_b32_e32 v5, v3
	s_or_b64 s[42:43], vcc, s[42:43]
	v_mov_b32_e32 v4, v2
	s_andn2_b64 exec, exec, s[42:43]
	s_cbranch_execnz .LBB3_1428
.LBB3_1429:                             ;   in Loop: Header=BB3_1361 Depth=2
	s_or_b64 exec, exec, s[24:25]
	global_load_dwordx2 v[2:3], v54, s[12:13] offset:16
	s_mov_b64 s[42:43], exec
	v_mbcnt_lo_u32_b32 v4, s42, 0
	v_mbcnt_hi_u32_b32 v4, s43, v4
	v_cmp_eq_u32_e32 vcc, 0, v4
	s_and_saveexec_b64 s[24:25], vcc
	s_cbranch_execz .LBB3_1431
; %bb.1430:                             ;   in Loop: Header=BB3_1361 Depth=2
	s_bcnt1_i32_b64 s41, s[42:43]
	v_mov_b32_e32 v53, s41
	s_waitcnt vmcnt(0)
	global_atomic_add_x2 v[2:3], v[53:54], off offset:8
.LBB3_1431:                             ;   in Loop: Header=BB3_1361 Depth=2
	s_or_b64 exec, exec, s[24:25]
	s_waitcnt vmcnt(0)
	global_load_dwordx2 v[4:5], v[2:3], off offset:16
	s_waitcnt vmcnt(0)
	v_cmp_eq_u64_e32 vcc, 0, v[4:5]
	s_cbranch_vccnz .LBB3_1433
; %bb.1432:                             ;   in Loop: Header=BB3_1361 Depth=2
	global_load_dword v53, v[2:3], off offset:24
	s_waitcnt vmcnt(0)
	v_readfirstlane_b32 s24, v53
	s_and_b32 m0, s24, 0xffffff
	global_store_dwordx2 v[4:5], v[53:54], off
	s_sendmsg sendmsg(MSG_INTERRUPT)
.LBB3_1433:                             ;   in Loop: Header=BB3_1361 Depth=2
	s_or_b64 exec, exec, s[22:23]
	v_add_co_u32_e32 v2, vcc, v20, v26
	v_addc_co_u32_e32 v3, vcc, 0, v21, vcc
	s_branch .LBB3_1437
.LBB3_1434:                             ;   in Loop: Header=BB3_1437 Depth=3
	s_or_b64 exec, exec, s[22:23]
	v_readfirstlane_b32 s22, v4
	s_cmp_eq_u32 s22, 0
	s_cbranch_scc1 .LBB3_1436
; %bb.1435:                             ;   in Loop: Header=BB3_1437 Depth=3
	s_sleep 1
	s_cbranch_execnz .LBB3_1437
	s_branch .LBB3_1439
.LBB3_1436:                             ;   in Loop: Header=BB3_1361 Depth=2
	s_branch .LBB3_1439
.LBB3_1437:                             ;   Parent Loop BB3_3 Depth=1
                                        ;     Parent Loop BB3_1361 Depth=2
                                        ; =>    This Inner Loop Header: Depth=3
	v_mov_b32_e32 v4, 1
	s_and_saveexec_b64 s[22:23], s[4:5]
	s_cbranch_execz .LBB3_1434
; %bb.1438:                             ;   in Loop: Header=BB3_1437 Depth=3
	global_load_dword v4, v[22:23], off offset:20 glc
	s_waitcnt vmcnt(0)
	buffer_wbinvl1_vol
	v_and_b32_e32 v4, 1, v4
	s_branch .LBB3_1434
.LBB3_1439:                             ;   in Loop: Header=BB3_1361 Depth=2
	global_load_dwordx2 v[2:3], v[2:3], off
	s_and_saveexec_b64 s[22:23], s[4:5]
	s_cbranch_execz .LBB3_1360
; %bb.1440:                             ;   in Loop: Header=BB3_1361 Depth=2
	global_load_dwordx2 v[4:5], v54, s[12:13] offset:40
	global_load_dwordx2 v[12:13], v54, s[12:13] offset:24 glc
	global_load_dwordx2 v[6:7], v54, s[12:13]
	s_waitcnt vmcnt(2)
	v_readfirstlane_b32 s24, v4
	v_readfirstlane_b32 s25, v5
	s_add_u32 s41, s24, 1
	s_addc_u32 s42, s25, 0
	s_add_u32 s4, s41, s20
	s_addc_u32 s5, s42, s21
	s_cmp_eq_u64 s[4:5], 0
	s_cselect_b32 s5, s42, s5
	s_cselect_b32 s4, s41, s4
	s_and_b64 s[20:21], s[4:5], s[24:25]
	s_mul_i32 s21, s21, 24
	s_mul_hi_u32 s24, s20, 24
	s_mul_i32 s20, s20, 24
	s_add_i32 s21, s24, s21
	v_mov_b32_e32 v4, s21
	s_waitcnt vmcnt(0)
	v_add_co_u32_e32 v8, vcc, s20, v6
	v_addc_co_u32_e32 v9, vcc, v7, v4, vcc
	v_mov_b32_e32 v10, s4
	global_store_dwordx2 v[8:9], v[12:13], off
	v_mov_b32_e32 v11, s5
	s_waitcnt vmcnt(0)
	global_atomic_cmpswap_x2 v[6:7], v54, v[10:13], s[12:13] offset:24 glc
	s_waitcnt vmcnt(0)
	v_cmp_ne_u64_e32 vcc, v[6:7], v[12:13]
	s_and_b64 exec, exec, vcc
	s_cbranch_execz .LBB3_1360
; %bb.1441:                             ;   in Loop: Header=BB3_1361 Depth=2
	s_mov_b64 s[20:21], 0
.LBB3_1442:                             ;   Parent Loop BB3_3 Depth=1
                                        ;     Parent Loop BB3_1361 Depth=2
                                        ; =>    This Inner Loop Header: Depth=3
	s_sleep 1
	global_store_dwordx2 v[8:9], v[6:7], off
	v_mov_b32_e32 v4, s4
	v_mov_b32_e32 v5, s5
	s_waitcnt vmcnt(0)
	global_atomic_cmpswap_x2 v[4:5], v54, v[4:7], s[12:13] offset:24 glc
	s_waitcnt vmcnt(0)
	v_cmp_eq_u64_e32 vcc, v[4:5], v[6:7]
	v_mov_b32_e32 v7, v5
	s_or_b64 s[20:21], vcc, s[20:21]
	v_mov_b32_e32 v6, v4
	s_andn2_b64 exec, exec, s[20:21]
	s_cbranch_execnz .LBB3_1442
	s_branch .LBB3_1360
.LBB3_1443:                             ;   in Loop: Header=BB3_3 Depth=1
	s_branch .LBB3_1472
.LBB3_1444:                             ;   in Loop: Header=BB3_3 Depth=1
                                        ; implicit-def: $vgpr2_vgpr3
	s_cbranch_execz .LBB3_1472
; %bb.1445:                             ;   in Loop: Header=BB3_3 Depth=1
	v_readfirstlane_b32 s4, v47
	s_waitcnt vmcnt(0)
	v_mov_b32_e32 v2, 0
	v_mov_b32_e32 v3, 0
	v_cmp_eq_u32_e64 s[4:5], s4, v47
	s_and_saveexec_b64 s[14:15], s[4:5]
	s_cbranch_execz .LBB3_1451
; %bb.1446:                             ;   in Loop: Header=BB3_3 Depth=1
	global_load_dwordx2 v[4:5], v54, s[12:13] offset:24 glc
	s_waitcnt vmcnt(0)
	buffer_wbinvl1_vol
	global_load_dwordx2 v[2:3], v54, s[12:13] offset:40
	global_load_dwordx2 v[6:7], v54, s[12:13]
	s_waitcnt vmcnt(1)
	v_and_b32_e32 v2, v2, v4
	v_and_b32_e32 v3, v3, v5
	v_mul_lo_u32 v3, v3, 24
	v_mul_hi_u32 v8, v2, 24
	v_mul_lo_u32 v2, v2, 24
	v_add_u32_e32 v3, v8, v3
	s_waitcnt vmcnt(0)
	v_add_co_u32_e32 v2, vcc, v6, v2
	v_addc_co_u32_e32 v3, vcc, v7, v3, vcc
	global_load_dwordx2 v[2:3], v[2:3], off glc
	s_waitcnt vmcnt(0)
	global_atomic_cmpswap_x2 v[2:3], v54, v[2:5], s[12:13] offset:24 glc
	s_waitcnt vmcnt(0)
	buffer_wbinvl1_vol
	v_cmp_ne_u64_e32 vcc, v[2:3], v[4:5]
	s_and_saveexec_b64 s[16:17], vcc
	s_cbranch_execz .LBB3_1450
; %bb.1447:                             ;   in Loop: Header=BB3_3 Depth=1
	s_mov_b64 s[18:19], 0
.LBB3_1448:                             ;   Parent Loop BB3_3 Depth=1
                                        ; =>  This Inner Loop Header: Depth=2
	s_sleep 1
	global_load_dwordx2 v[6:7], v54, s[12:13] offset:40
	global_load_dwordx2 v[8:9], v54, s[12:13]
	v_mov_b32_e32 v5, v3
	v_mov_b32_e32 v4, v2
	s_waitcnt vmcnt(1)
	v_and_b32_e32 v2, v6, v4
	s_waitcnt vmcnt(0)
	v_mad_u64_u32 v[2:3], s[20:21], v2, 24, v[8:9]
	v_and_b32_e32 v6, v7, v5
	v_mad_u64_u32 v[6:7], s[20:21], v6, 24, v[3:4]
	v_mov_b32_e32 v3, v6
	global_load_dwordx2 v[2:3], v[2:3], off glc
	s_waitcnt vmcnt(0)
	global_atomic_cmpswap_x2 v[2:3], v54, v[2:5], s[12:13] offset:24 glc
	s_waitcnt vmcnt(0)
	buffer_wbinvl1_vol
	v_cmp_eq_u64_e32 vcc, v[2:3], v[4:5]
	s_or_b64 s[18:19], vcc, s[18:19]
	s_andn2_b64 exec, exec, s[18:19]
	s_cbranch_execnz .LBB3_1448
; %bb.1449:                             ;   in Loop: Header=BB3_3 Depth=1
	s_or_b64 exec, exec, s[18:19]
.LBB3_1450:                             ;   in Loop: Header=BB3_3 Depth=1
	s_or_b64 exec, exec, s[16:17]
.LBB3_1451:                             ;   in Loop: Header=BB3_3 Depth=1
	s_or_b64 exec, exec, s[14:15]
	global_load_dwordx2 v[8:9], v54, s[12:13] offset:40
	global_load_dwordx4 v[4:7], v54, s[12:13]
	v_readfirstlane_b32 s15, v3
	v_readfirstlane_b32 s14, v2
	s_mov_b64 s[16:17], exec
	s_waitcnt vmcnt(1)
	v_readfirstlane_b32 s18, v8
	v_readfirstlane_b32 s19, v9
	s_and_b64 s[18:19], s[18:19], s[14:15]
	s_mul_i32 s20, s19, 24
	s_mul_hi_u32 s21, s18, 24
	s_mul_i32 s22, s18, 24
	s_add_i32 s20, s21, s20
	v_mov_b32_e32 v2, s20
	s_waitcnt vmcnt(0)
	v_add_co_u32_e32 v8, vcc, s22, v4
	v_addc_co_u32_e32 v9, vcc, v5, v2, vcc
	s_and_saveexec_b64 s[20:21], s[4:5]
	s_cbranch_execz .LBB3_1453
; %bb.1452:                             ;   in Loop: Header=BB3_3 Depth=1
	v_mov_b32_e32 v38, s17
	v_mov_b32_e32 v37, s16
	global_store_dwordx4 v[8:9], v[37:40], off offset:8
.LBB3_1453:                             ;   in Loop: Header=BB3_3 Depth=1
	s_or_b64 exec, exec, s[20:21]
	s_lshl_b64 s[16:17], s[18:19], 12
	v_mov_b32_e32 v2, s17
	v_add_co_u32_e32 v6, vcc, s16, v6
	v_addc_co_u32_e32 v7, vcc, v7, v2, vcc
	v_and_or_b32 v0, v0, s48, 32
	v_mov_b32_e32 v2, v54
	v_mov_b32_e32 v3, v54
	v_readfirstlane_b32 s16, v6
	v_readfirstlane_b32 s17, v7
	s_mov_b32 s41, s40
	s_mov_b32 s42, s40
	;; [unrolled: 1-line block ×3, first 2 shown]
	s_nop 1
	global_store_dwordx4 v26, v[0:3], s[16:17]
	s_nop 0
	v_mov_b32_e32 v0, s40
	v_mov_b32_e32 v1, s41
	;; [unrolled: 1-line block ×4, first 2 shown]
	global_store_dwordx4 v26, v[0:3], s[16:17] offset:16
	global_store_dwordx4 v26, v[0:3], s[16:17] offset:32
	;; [unrolled: 1-line block ×3, first 2 shown]
	s_and_saveexec_b64 s[16:17], s[4:5]
	s_cbranch_execz .LBB3_1461
; %bb.1454:                             ;   in Loop: Header=BB3_3 Depth=1
	global_load_dwordx2 v[12:13], v54, s[12:13] offset:32 glc
	global_load_dwordx2 v[0:1], v54, s[12:13] offset:40
	v_mov_b32_e32 v10, s14
	v_mov_b32_e32 v11, s15
	s_waitcnt vmcnt(0)
	v_readfirstlane_b32 s18, v0
	v_readfirstlane_b32 s19, v1
	s_and_b64 s[18:19], s[18:19], s[14:15]
	s_mul_i32 s19, s19, 24
	s_mul_hi_u32 s20, s18, 24
	s_mul_i32 s18, s18, 24
	s_add_i32 s19, s20, s19
	v_mov_b32_e32 v0, s19
	v_add_co_u32_e32 v4, vcc, s18, v4
	v_addc_co_u32_e32 v5, vcc, v5, v0, vcc
	global_store_dwordx2 v[4:5], v[12:13], off
	s_waitcnt vmcnt(0)
	global_atomic_cmpswap_x2 v[2:3], v54, v[10:13], s[12:13] offset:32 glc
	s_waitcnt vmcnt(0)
	v_cmp_ne_u64_e32 vcc, v[2:3], v[12:13]
	s_and_saveexec_b64 s[18:19], vcc
	s_cbranch_execz .LBB3_1457
; %bb.1455:                             ;   in Loop: Header=BB3_3 Depth=1
	s_mov_b64 s[20:21], 0
.LBB3_1456:                             ;   Parent Loop BB3_3 Depth=1
                                        ; =>  This Inner Loop Header: Depth=2
	s_sleep 1
	global_store_dwordx2 v[4:5], v[2:3], off
	v_mov_b32_e32 v0, s14
	v_mov_b32_e32 v1, s15
	s_waitcnt vmcnt(0)
	global_atomic_cmpswap_x2 v[0:1], v54, v[0:3], s[12:13] offset:32 glc
	s_waitcnt vmcnt(0)
	v_cmp_eq_u64_e32 vcc, v[0:1], v[2:3]
	v_mov_b32_e32 v3, v1
	s_or_b64 s[20:21], vcc, s[20:21]
	v_mov_b32_e32 v2, v0
	s_andn2_b64 exec, exec, s[20:21]
	s_cbranch_execnz .LBB3_1456
.LBB3_1457:                             ;   in Loop: Header=BB3_3 Depth=1
	s_or_b64 exec, exec, s[18:19]
	global_load_dwordx2 v[0:1], v54, s[12:13] offset:16
	s_mov_b64 s[20:21], exec
	v_mbcnt_lo_u32_b32 v2, s20, 0
	v_mbcnt_hi_u32_b32 v2, s21, v2
	v_cmp_eq_u32_e32 vcc, 0, v2
	s_and_saveexec_b64 s[18:19], vcc
	s_cbranch_execz .LBB3_1459
; %bb.1458:                             ;   in Loop: Header=BB3_3 Depth=1
	s_bcnt1_i32_b64 s20, s[20:21]
	v_mov_b32_e32 v53, s20
	s_waitcnt vmcnt(0)
	global_atomic_add_x2 v[0:1], v[53:54], off offset:8
.LBB3_1459:                             ;   in Loop: Header=BB3_3 Depth=1
	s_or_b64 exec, exec, s[18:19]
	s_waitcnt vmcnt(0)
	global_load_dwordx2 v[2:3], v[0:1], off offset:16
	s_waitcnt vmcnt(0)
	v_cmp_eq_u64_e32 vcc, 0, v[2:3]
	s_cbranch_vccnz .LBB3_1461
; %bb.1460:                             ;   in Loop: Header=BB3_3 Depth=1
	global_load_dword v53, v[0:1], off offset:24
	s_waitcnt vmcnt(0)
	v_readfirstlane_b32 s18, v53
	s_and_b32 m0, s18, 0xffffff
	global_store_dwordx2 v[2:3], v[53:54], off
	s_sendmsg sendmsg(MSG_INTERRUPT)
.LBB3_1461:                             ;   in Loop: Header=BB3_3 Depth=1
	s_or_b64 exec, exec, s[16:17]
	v_add_co_u32_e32 v0, vcc, v6, v26
	v_addc_co_u32_e32 v1, vcc, 0, v7, vcc
	s_branch .LBB3_1465
.LBB3_1462:                             ;   in Loop: Header=BB3_1465 Depth=2
	s_or_b64 exec, exec, s[16:17]
	v_readfirstlane_b32 s16, v2
	s_cmp_eq_u32 s16, 0
	s_cbranch_scc1 .LBB3_1464
; %bb.1463:                             ;   in Loop: Header=BB3_1465 Depth=2
	s_sleep 1
	s_cbranch_execnz .LBB3_1465
	s_branch .LBB3_1467
.LBB3_1464:                             ;   in Loop: Header=BB3_3 Depth=1
	s_branch .LBB3_1467
.LBB3_1465:                             ;   Parent Loop BB3_3 Depth=1
                                        ; =>  This Inner Loop Header: Depth=2
	v_mov_b32_e32 v2, 1
	s_and_saveexec_b64 s[16:17], s[4:5]
	s_cbranch_execz .LBB3_1462
; %bb.1466:                             ;   in Loop: Header=BB3_1465 Depth=2
	global_load_dword v2, v[8:9], off offset:20 glc
	s_waitcnt vmcnt(0)
	buffer_wbinvl1_vol
	v_and_b32_e32 v2, 1, v2
	s_branch .LBB3_1462
.LBB3_1467:                             ;   in Loop: Header=BB3_3 Depth=1
	global_load_dwordx2 v[2:3], v[0:1], off
	s_and_saveexec_b64 s[16:17], s[4:5]
	s_cbranch_execz .LBB3_1471
; %bb.1468:                             ;   in Loop: Header=BB3_3 Depth=1
	global_load_dwordx2 v[0:1], v54, s[12:13] offset:40
	global_load_dwordx2 v[8:9], v54, s[12:13] offset:24 glc
	global_load_dwordx2 v[4:5], v54, s[12:13]
	s_waitcnt vmcnt(2)
	v_readfirstlane_b32 s18, v0
	v_readfirstlane_b32 s19, v1
	s_add_u32 s20, s18, 1
	s_addc_u32 s21, s19, 0
	s_add_u32 s4, s20, s14
	s_addc_u32 s5, s21, s15
	s_cmp_eq_u64 s[4:5], 0
	s_cselect_b32 s5, s21, s5
	s_cselect_b32 s4, s20, s4
	s_and_b64 s[14:15], s[4:5], s[18:19]
	s_mul_i32 s15, s15, 24
	s_mul_hi_u32 s18, s14, 24
	s_mul_i32 s14, s14, 24
	s_add_i32 s15, s18, s15
	v_mov_b32_e32 v1, s15
	s_waitcnt vmcnt(0)
	v_add_co_u32_e32 v0, vcc, s14, v4
	v_addc_co_u32_e32 v1, vcc, v5, v1, vcc
	v_mov_b32_e32 v6, s4
	global_store_dwordx2 v[0:1], v[8:9], off
	v_mov_b32_e32 v7, s5
	s_waitcnt vmcnt(0)
	global_atomic_cmpswap_x2 v[6:7], v54, v[6:9], s[12:13] offset:24 glc
	s_waitcnt vmcnt(0)
	v_cmp_ne_u64_e32 vcc, v[6:7], v[8:9]
	s_and_b64 exec, exec, vcc
	s_cbranch_execz .LBB3_1471
; %bb.1469:                             ;   in Loop: Header=BB3_3 Depth=1
	s_mov_b64 s[14:15], 0
.LBB3_1470:                             ;   Parent Loop BB3_3 Depth=1
                                        ; =>  This Inner Loop Header: Depth=2
	s_sleep 1
	global_store_dwordx2 v[0:1], v[6:7], off
	v_mov_b32_e32 v4, s4
	v_mov_b32_e32 v5, s5
	s_waitcnt vmcnt(0)
	global_atomic_cmpswap_x2 v[4:5], v54, v[4:7], s[12:13] offset:24 glc
	s_waitcnt vmcnt(0)
	v_cmp_eq_u64_e32 vcc, v[4:5], v[6:7]
	v_mov_b32_e32 v7, v5
	s_or_b64 s[14:15], vcc, s[14:15]
	v_mov_b32_e32 v6, v4
	s_andn2_b64 exec, exec, s[14:15]
	s_cbranch_execnz .LBB3_1470
.LBB3_1471:                             ;   in Loop: Header=BB3_3 Depth=1
	s_or_b64 exec, exec, s[16:17]
.LBB3_1472:                             ;   in Loop: Header=BB3_3 Depth=1
	v_readfirstlane_b32 s4, v47
	s_waitcnt vmcnt(0)
	v_mov_b32_e32 v0, 0
	v_mov_b32_e32 v1, 0
	v_cmp_eq_u32_e64 s[4:5], s4, v47
	s_and_saveexec_b64 s[14:15], s[4:5]
	s_cbranch_execz .LBB3_1478
; %bb.1473:                             ;   in Loop: Header=BB3_3 Depth=1
	global_load_dwordx2 v[6:7], v54, s[12:13] offset:24 glc
	s_waitcnt vmcnt(0)
	buffer_wbinvl1_vol
	global_load_dwordx2 v[0:1], v54, s[12:13] offset:40
	global_load_dwordx2 v[4:5], v54, s[12:13]
	s_waitcnt vmcnt(1)
	v_and_b32_e32 v0, v0, v6
	v_and_b32_e32 v1, v1, v7
	v_mul_lo_u32 v1, v1, 24
	v_mul_hi_u32 v8, v0, 24
	v_mul_lo_u32 v0, v0, 24
	v_add_u32_e32 v1, v8, v1
	s_waitcnt vmcnt(0)
	v_add_co_u32_e32 v0, vcc, v4, v0
	v_addc_co_u32_e32 v1, vcc, v5, v1, vcc
	global_load_dwordx2 v[4:5], v[0:1], off glc
	s_waitcnt vmcnt(0)
	global_atomic_cmpswap_x2 v[0:1], v54, v[4:7], s[12:13] offset:24 glc
	s_waitcnt vmcnt(0)
	buffer_wbinvl1_vol
	v_cmp_ne_u64_e32 vcc, v[0:1], v[6:7]
	s_and_saveexec_b64 s[16:17], vcc
	s_cbranch_execz .LBB3_1477
; %bb.1474:                             ;   in Loop: Header=BB3_3 Depth=1
	s_mov_b64 s[18:19], 0
.LBB3_1475:                             ;   Parent Loop BB3_3 Depth=1
                                        ; =>  This Inner Loop Header: Depth=2
	s_sleep 1
	global_load_dwordx2 v[4:5], v54, s[12:13] offset:40
	global_load_dwordx2 v[8:9], v54, s[12:13]
	v_mov_b32_e32 v7, v1
	v_mov_b32_e32 v6, v0
	s_waitcnt vmcnt(1)
	v_and_b32_e32 v0, v4, v6
	s_waitcnt vmcnt(0)
	v_mad_u64_u32 v[0:1], s[20:21], v0, 24, v[8:9]
	v_and_b32_e32 v4, v5, v7
	v_mad_u64_u32 v[4:5], s[20:21], v4, 24, v[1:2]
	v_mov_b32_e32 v1, v4
	global_load_dwordx2 v[4:5], v[0:1], off glc
	s_waitcnt vmcnt(0)
	global_atomic_cmpswap_x2 v[0:1], v54, v[4:7], s[12:13] offset:24 glc
	s_waitcnt vmcnt(0)
	buffer_wbinvl1_vol
	v_cmp_eq_u64_e32 vcc, v[0:1], v[6:7]
	s_or_b64 s[18:19], vcc, s[18:19]
	s_andn2_b64 exec, exec, s[18:19]
	s_cbranch_execnz .LBB3_1475
; %bb.1476:                             ;   in Loop: Header=BB3_3 Depth=1
	s_or_b64 exec, exec, s[18:19]
.LBB3_1477:                             ;   in Loop: Header=BB3_3 Depth=1
	s_or_b64 exec, exec, s[16:17]
.LBB3_1478:                             ;   in Loop: Header=BB3_3 Depth=1
	s_or_b64 exec, exec, s[14:15]
	global_load_dwordx2 v[4:5], v54, s[12:13] offset:40
	global_load_dwordx4 v[6:9], v54, s[12:13]
	v_readfirstlane_b32 s15, v1
	v_readfirstlane_b32 s14, v0
	s_mov_b64 s[16:17], exec
	s_waitcnt vmcnt(1)
	v_readfirstlane_b32 s18, v4
	v_readfirstlane_b32 s19, v5
	s_and_b64 s[18:19], s[18:19], s[14:15]
	s_mul_i32 s20, s19, 24
	s_mul_hi_u32 s21, s18, 24
	s_mul_i32 s22, s18, 24
	s_add_i32 s20, s21, s20
	v_mov_b32_e32 v0, s20
	s_waitcnt vmcnt(0)
	v_add_co_u32_e32 v10, vcc, s22, v6
	v_addc_co_u32_e32 v11, vcc, v7, v0, vcc
	s_and_saveexec_b64 s[20:21], s[4:5]
	s_cbranch_execz .LBB3_1480
; %bb.1479:                             ;   in Loop: Header=BB3_3 Depth=1
	v_mov_b32_e32 v38, s17
	v_mov_b32_e32 v37, s16
	global_store_dwordx4 v[10:11], v[37:40], off offset:8
.LBB3_1480:                             ;   in Loop: Header=BB3_3 Depth=1
	s_or_b64 exec, exec, s[20:21]
	s_lshl_b64 s[16:17], s[18:19], 12
	v_mov_b32_e32 v0, s17
	v_add_co_u32_e32 v8, vcc, s16, v8
	v_addc_co_u32_e32 v9, vcc, v9, v0, vcc
	v_and_or_b32 v2, v2, s48, 32
	v_mov_b32_e32 v4, v50
	v_mov_b32_e32 v5, v51
	v_readfirstlane_b32 s16, v8
	v_readfirstlane_b32 s17, v9
	s_mov_b32 s41, s40
	s_mov_b32 s42, s40
	;; [unrolled: 1-line block ×3, first 2 shown]
	s_nop 1
	global_store_dwordx4 v26, v[2:5], s[16:17]
	v_mov_b32_e32 v0, s40
	v_mov_b32_e32 v1, s41
	;; [unrolled: 1-line block ×4, first 2 shown]
	global_store_dwordx4 v26, v[0:3], s[16:17] offset:16
	global_store_dwordx4 v26, v[0:3], s[16:17] offset:32
	;; [unrolled: 1-line block ×3, first 2 shown]
	s_and_saveexec_b64 s[16:17], s[4:5]
	s_cbranch_execz .LBB3_1488
; %bb.1481:                             ;   in Loop: Header=BB3_3 Depth=1
	global_load_dwordx2 v[14:15], v54, s[12:13] offset:32 glc
	global_load_dwordx2 v[0:1], v54, s[12:13] offset:40
	v_mov_b32_e32 v12, s14
	v_mov_b32_e32 v13, s15
	s_waitcnt vmcnt(0)
	v_readfirstlane_b32 s18, v0
	v_readfirstlane_b32 s19, v1
	s_and_b64 s[18:19], s[18:19], s[14:15]
	s_mul_i32 s19, s19, 24
	s_mul_hi_u32 s20, s18, 24
	s_mul_i32 s18, s18, 24
	s_add_i32 s19, s20, s19
	v_mov_b32_e32 v0, s19
	v_add_co_u32_e32 v4, vcc, s18, v6
	v_addc_co_u32_e32 v5, vcc, v7, v0, vcc
	global_store_dwordx2 v[4:5], v[14:15], off
	s_waitcnt vmcnt(0)
	global_atomic_cmpswap_x2 v[2:3], v54, v[12:15], s[12:13] offset:32 glc
	s_waitcnt vmcnt(0)
	v_cmp_ne_u64_e32 vcc, v[2:3], v[14:15]
	s_and_saveexec_b64 s[18:19], vcc
	s_cbranch_execz .LBB3_1484
; %bb.1482:                             ;   in Loop: Header=BB3_3 Depth=1
	s_mov_b64 s[20:21], 0
.LBB3_1483:                             ;   Parent Loop BB3_3 Depth=1
                                        ; =>  This Inner Loop Header: Depth=2
	s_sleep 1
	global_store_dwordx2 v[4:5], v[2:3], off
	v_mov_b32_e32 v0, s14
	v_mov_b32_e32 v1, s15
	s_waitcnt vmcnt(0)
	global_atomic_cmpswap_x2 v[0:1], v54, v[0:3], s[12:13] offset:32 glc
	s_waitcnt vmcnt(0)
	v_cmp_eq_u64_e32 vcc, v[0:1], v[2:3]
	v_mov_b32_e32 v3, v1
	s_or_b64 s[20:21], vcc, s[20:21]
	v_mov_b32_e32 v2, v0
	s_andn2_b64 exec, exec, s[20:21]
	s_cbranch_execnz .LBB3_1483
.LBB3_1484:                             ;   in Loop: Header=BB3_3 Depth=1
	s_or_b64 exec, exec, s[18:19]
	global_load_dwordx2 v[0:1], v54, s[12:13] offset:16
	s_mov_b64 s[20:21], exec
	v_mbcnt_lo_u32_b32 v2, s20, 0
	v_mbcnt_hi_u32_b32 v2, s21, v2
	v_cmp_eq_u32_e32 vcc, 0, v2
	s_and_saveexec_b64 s[18:19], vcc
	s_cbranch_execz .LBB3_1486
; %bb.1485:                             ;   in Loop: Header=BB3_3 Depth=1
	s_bcnt1_i32_b64 s20, s[20:21]
	v_mov_b32_e32 v53, s20
	s_waitcnt vmcnt(0)
	global_atomic_add_x2 v[0:1], v[53:54], off offset:8
.LBB3_1486:                             ;   in Loop: Header=BB3_3 Depth=1
	s_or_b64 exec, exec, s[18:19]
	s_waitcnt vmcnt(0)
	global_load_dwordx2 v[2:3], v[0:1], off offset:16
	s_waitcnt vmcnt(0)
	v_cmp_eq_u64_e32 vcc, 0, v[2:3]
	s_cbranch_vccnz .LBB3_1488
; %bb.1487:                             ;   in Loop: Header=BB3_3 Depth=1
	global_load_dword v53, v[0:1], off offset:24
	s_waitcnt vmcnt(0)
	v_readfirstlane_b32 s18, v53
	s_and_b32 m0, s18, 0xffffff
	global_store_dwordx2 v[2:3], v[53:54], off
	s_sendmsg sendmsg(MSG_INTERRUPT)
.LBB3_1488:                             ;   in Loop: Header=BB3_3 Depth=1
	s_or_b64 exec, exec, s[16:17]
	v_add_co_u32_e32 v0, vcc, v8, v26
	v_addc_co_u32_e32 v1, vcc, 0, v9, vcc
	s_branch .LBB3_1492
.LBB3_1489:                             ;   in Loop: Header=BB3_1492 Depth=2
	s_or_b64 exec, exec, s[16:17]
	v_readfirstlane_b32 s16, v2
	s_cmp_eq_u32 s16, 0
	s_cbranch_scc1 .LBB3_1491
; %bb.1490:                             ;   in Loop: Header=BB3_1492 Depth=2
	s_sleep 1
	s_cbranch_execnz .LBB3_1492
	s_branch .LBB3_1494
.LBB3_1491:                             ;   in Loop: Header=BB3_3 Depth=1
	s_branch .LBB3_1494
.LBB3_1492:                             ;   Parent Loop BB3_3 Depth=1
                                        ; =>  This Inner Loop Header: Depth=2
	v_mov_b32_e32 v2, 1
	s_and_saveexec_b64 s[16:17], s[4:5]
	s_cbranch_execz .LBB3_1489
; %bb.1493:                             ;   in Loop: Header=BB3_1492 Depth=2
	global_load_dword v2, v[10:11], off offset:20 glc
	s_waitcnt vmcnt(0)
	buffer_wbinvl1_vol
	v_and_b32_e32 v2, 1, v2
	s_branch .LBB3_1489
.LBB3_1494:                             ;   in Loop: Header=BB3_3 Depth=1
	global_load_dwordx2 v[0:1], v[0:1], off
	s_and_saveexec_b64 s[16:17], s[4:5]
	s_cbranch_execz .LBB3_1498
; %bb.1495:                             ;   in Loop: Header=BB3_3 Depth=1
	global_load_dwordx2 v[2:3], v54, s[12:13] offset:40
	global_load_dwordx2 v[10:11], v54, s[12:13] offset:24 glc
	global_load_dwordx2 v[4:5], v54, s[12:13]
	s_waitcnt vmcnt(2)
	v_readfirstlane_b32 s18, v2
	v_readfirstlane_b32 s19, v3
	s_add_u32 s20, s18, 1
	s_addc_u32 s21, s19, 0
	s_add_u32 s4, s20, s14
	s_addc_u32 s5, s21, s15
	s_cmp_eq_u64 s[4:5], 0
	s_cselect_b32 s5, s21, s5
	s_cselect_b32 s4, s20, s4
	s_and_b64 s[14:15], s[4:5], s[18:19]
	s_mul_i32 s15, s15, 24
	s_mul_hi_u32 s18, s14, 24
	s_mul_i32 s14, s14, 24
	s_add_i32 s15, s18, s15
	v_mov_b32_e32 v2, s15
	s_waitcnt vmcnt(0)
	v_add_co_u32_e32 v6, vcc, s14, v4
	v_addc_co_u32_e32 v7, vcc, v5, v2, vcc
	v_mov_b32_e32 v8, s4
	global_store_dwordx2 v[6:7], v[10:11], off
	v_mov_b32_e32 v9, s5
	s_waitcnt vmcnt(0)
	global_atomic_cmpswap_x2 v[4:5], v54, v[8:11], s[12:13] offset:24 glc
	s_waitcnt vmcnt(0)
	v_cmp_ne_u64_e32 vcc, v[4:5], v[10:11]
	s_and_b64 exec, exec, vcc
	s_cbranch_execz .LBB3_1498
; %bb.1496:                             ;   in Loop: Header=BB3_3 Depth=1
	s_mov_b64 s[14:15], 0
.LBB3_1497:                             ;   Parent Loop BB3_3 Depth=1
                                        ; =>  This Inner Loop Header: Depth=2
	s_sleep 1
	global_store_dwordx2 v[6:7], v[4:5], off
	v_mov_b32_e32 v2, s4
	v_mov_b32_e32 v3, s5
	s_waitcnt vmcnt(0)
	global_atomic_cmpswap_x2 v[2:3], v54, v[2:5], s[12:13] offset:24 glc
	s_waitcnt vmcnt(0)
	v_cmp_eq_u64_e32 vcc, v[2:3], v[4:5]
	v_mov_b32_e32 v5, v3
	s_or_b64 s[14:15], vcc, s[14:15]
	v_mov_b32_e32 v4, v2
	s_andn2_b64 exec, exec, s[14:15]
	s_cbranch_execnz .LBB3_1497
.LBB3_1498:                             ;   in Loop: Header=BB3_3 Depth=1
	s_or_b64 exec, exec, s[16:17]
	v_readfirstlane_b32 s4, v47
	v_mov_b32_e32 v2, 0
	v_mov_b32_e32 v3, 0
	v_cmp_eq_u32_e64 s[4:5], s4, v47
	s_and_saveexec_b64 s[14:15], s[4:5]
	s_cbranch_execz .LBB3_1504
; %bb.1499:                             ;   in Loop: Header=BB3_3 Depth=1
	global_load_dwordx2 v[4:5], v54, s[12:13] offset:24 glc
	s_waitcnt vmcnt(0)
	buffer_wbinvl1_vol
	global_load_dwordx2 v[2:3], v54, s[12:13] offset:40
	global_load_dwordx2 v[6:7], v54, s[12:13]
	s_waitcnt vmcnt(1)
	v_and_b32_e32 v2, v2, v4
	v_and_b32_e32 v3, v3, v5
	v_mul_lo_u32 v3, v3, 24
	v_mul_hi_u32 v8, v2, 24
	v_mul_lo_u32 v2, v2, 24
	v_add_u32_e32 v3, v8, v3
	s_waitcnt vmcnt(0)
	v_add_co_u32_e32 v2, vcc, v6, v2
	v_addc_co_u32_e32 v3, vcc, v7, v3, vcc
	global_load_dwordx2 v[2:3], v[2:3], off glc
	s_waitcnt vmcnt(0)
	global_atomic_cmpswap_x2 v[2:3], v54, v[2:5], s[12:13] offset:24 glc
	s_waitcnt vmcnt(0)
	buffer_wbinvl1_vol
	v_cmp_ne_u64_e32 vcc, v[2:3], v[4:5]
	s_and_saveexec_b64 s[16:17], vcc
	s_cbranch_execz .LBB3_1503
; %bb.1500:                             ;   in Loop: Header=BB3_3 Depth=1
	s_mov_b64 s[18:19], 0
.LBB3_1501:                             ;   Parent Loop BB3_3 Depth=1
                                        ; =>  This Inner Loop Header: Depth=2
	s_sleep 1
	global_load_dwordx2 v[6:7], v54, s[12:13] offset:40
	global_load_dwordx2 v[8:9], v54, s[12:13]
	v_mov_b32_e32 v5, v3
	v_mov_b32_e32 v4, v2
	s_waitcnt vmcnt(1)
	v_and_b32_e32 v2, v6, v4
	s_waitcnt vmcnt(0)
	v_mad_u64_u32 v[2:3], s[20:21], v2, 24, v[8:9]
	v_and_b32_e32 v6, v7, v5
	v_mad_u64_u32 v[6:7], s[20:21], v6, 24, v[3:4]
	v_mov_b32_e32 v3, v6
	global_load_dwordx2 v[2:3], v[2:3], off glc
	s_waitcnt vmcnt(0)
	global_atomic_cmpswap_x2 v[2:3], v54, v[2:5], s[12:13] offset:24 glc
	s_waitcnt vmcnt(0)
	buffer_wbinvl1_vol
	v_cmp_eq_u64_e32 vcc, v[2:3], v[4:5]
	s_or_b64 s[18:19], vcc, s[18:19]
	s_andn2_b64 exec, exec, s[18:19]
	s_cbranch_execnz .LBB3_1501
; %bb.1502:                             ;   in Loop: Header=BB3_3 Depth=1
	s_or_b64 exec, exec, s[18:19]
.LBB3_1503:                             ;   in Loop: Header=BB3_3 Depth=1
	s_or_b64 exec, exec, s[16:17]
.LBB3_1504:                             ;   in Loop: Header=BB3_3 Depth=1
	s_or_b64 exec, exec, s[14:15]
	global_load_dwordx2 v[8:9], v54, s[12:13] offset:40
	global_load_dwordx4 v[4:7], v54, s[12:13]
	v_readfirstlane_b32 s15, v3
	v_readfirstlane_b32 s14, v2
	s_mov_b64 s[16:17], exec
	s_waitcnt vmcnt(1)
	v_readfirstlane_b32 s18, v8
	v_readfirstlane_b32 s19, v9
	s_and_b64 s[18:19], s[18:19], s[14:15]
	s_mul_i32 s20, s19, 24
	s_mul_hi_u32 s21, s18, 24
	s_mul_i32 s22, s18, 24
	s_add_i32 s20, s21, s20
	v_mov_b32_e32 v2, s20
	s_waitcnt vmcnt(0)
	v_add_co_u32_e32 v8, vcc, s22, v4
	v_addc_co_u32_e32 v9, vcc, v5, v2, vcc
	s_and_saveexec_b64 s[20:21], s[4:5]
	s_cbranch_execz .LBB3_1506
; %bb.1505:                             ;   in Loop: Header=BB3_3 Depth=1
	v_mov_b32_e32 v38, s17
	v_mov_b32_e32 v37, s16
	global_store_dwordx4 v[8:9], v[37:40], off offset:8
.LBB3_1506:                             ;   in Loop: Header=BB3_3 Depth=1
	s_or_b64 exec, exec, s[20:21]
	s_lshl_b64 s[16:17], s[18:19], 12
	v_mov_b32_e32 v2, s17
	v_add_co_u32_e32 v6, vcc, s16, v6
	v_addc_co_u32_e32 v7, vcc, v7, v2, vcc
	v_add_u32_e32 v10, v27, v25
	v_and_or_b32 v0, v0, s48, 32
	v_mov_b32_e32 v2, v10
	v_mov_b32_e32 v3, v54
	v_readfirstlane_b32 s16, v6
	v_readfirstlane_b32 s17, v7
	s_mov_b32 s41, s40
	s_mov_b32 s42, s40
	;; [unrolled: 1-line block ×3, first 2 shown]
	s_nop 1
	global_store_dwordx4 v26, v[0:3], s[16:17]
	s_nop 0
	v_mov_b32_e32 v0, s40
	v_mov_b32_e32 v1, s41
	;; [unrolled: 1-line block ×4, first 2 shown]
	global_store_dwordx4 v26, v[0:3], s[16:17] offset:16
	global_store_dwordx4 v26, v[0:3], s[16:17] offset:32
	;; [unrolled: 1-line block ×3, first 2 shown]
	s_and_saveexec_b64 s[16:17], s[4:5]
	s_cbranch_execz .LBB3_1514
; %bb.1507:                             ;   in Loop: Header=BB3_3 Depth=1
	global_load_dwordx2 v[13:14], v54, s[12:13] offset:32 glc
	global_load_dwordx2 v[0:1], v54, s[12:13] offset:40
	v_mov_b32_e32 v11, s14
	v_mov_b32_e32 v12, s15
	s_waitcnt vmcnt(0)
	v_readfirstlane_b32 s18, v0
	v_readfirstlane_b32 s19, v1
	s_and_b64 s[18:19], s[18:19], s[14:15]
	s_mul_i32 s19, s19, 24
	s_mul_hi_u32 s20, s18, 24
	s_mul_i32 s18, s18, 24
	s_add_i32 s19, s20, s19
	v_mov_b32_e32 v0, s19
	v_add_co_u32_e32 v4, vcc, s18, v4
	v_addc_co_u32_e32 v5, vcc, v5, v0, vcc
	global_store_dwordx2 v[4:5], v[13:14], off
	s_waitcnt vmcnt(0)
	global_atomic_cmpswap_x2 v[2:3], v54, v[11:14], s[12:13] offset:32 glc
	s_waitcnt vmcnt(0)
	v_cmp_ne_u64_e32 vcc, v[2:3], v[13:14]
	s_and_saveexec_b64 s[18:19], vcc
	s_cbranch_execz .LBB3_1510
; %bb.1508:                             ;   in Loop: Header=BB3_3 Depth=1
	s_mov_b64 s[20:21], 0
.LBB3_1509:                             ;   Parent Loop BB3_3 Depth=1
                                        ; =>  This Inner Loop Header: Depth=2
	s_sleep 1
	global_store_dwordx2 v[4:5], v[2:3], off
	v_mov_b32_e32 v0, s14
	v_mov_b32_e32 v1, s15
	s_waitcnt vmcnt(0)
	global_atomic_cmpswap_x2 v[0:1], v54, v[0:3], s[12:13] offset:32 glc
	s_waitcnt vmcnt(0)
	v_cmp_eq_u64_e32 vcc, v[0:1], v[2:3]
	v_mov_b32_e32 v3, v1
	s_or_b64 s[20:21], vcc, s[20:21]
	v_mov_b32_e32 v2, v0
	s_andn2_b64 exec, exec, s[20:21]
	s_cbranch_execnz .LBB3_1509
.LBB3_1510:                             ;   in Loop: Header=BB3_3 Depth=1
	s_or_b64 exec, exec, s[18:19]
	global_load_dwordx2 v[0:1], v54, s[12:13] offset:16
	s_mov_b64 s[20:21], exec
	v_mbcnt_lo_u32_b32 v2, s20, 0
	v_mbcnt_hi_u32_b32 v2, s21, v2
	v_cmp_eq_u32_e32 vcc, 0, v2
	s_and_saveexec_b64 s[18:19], vcc
	s_cbranch_execz .LBB3_1512
; %bb.1511:                             ;   in Loop: Header=BB3_3 Depth=1
	s_bcnt1_i32_b64 s20, s[20:21]
	v_mov_b32_e32 v2, s20
	v_mov_b32_e32 v3, v54
	s_waitcnt vmcnt(0)
	global_atomic_add_x2 v[0:1], v[2:3], off offset:8
.LBB3_1512:                             ;   in Loop: Header=BB3_3 Depth=1
	s_or_b64 exec, exec, s[18:19]
	s_waitcnt vmcnt(0)
	global_load_dwordx2 v[2:3], v[0:1], off offset:16
	s_waitcnt vmcnt(0)
	v_cmp_eq_u64_e32 vcc, 0, v[2:3]
	s_cbranch_vccnz .LBB3_1514
; %bb.1513:                             ;   in Loop: Header=BB3_3 Depth=1
	global_load_dword v0, v[0:1], off offset:24
	v_mov_b32_e32 v1, v54
	s_waitcnt vmcnt(0)
	v_readfirstlane_b32 s18, v0
	s_and_b32 m0, s18, 0xffffff
	global_store_dwordx2 v[2:3], v[0:1], off
	s_sendmsg sendmsg(MSG_INTERRUPT)
.LBB3_1514:                             ;   in Loop: Header=BB3_3 Depth=1
	s_or_b64 exec, exec, s[16:17]
	v_add_co_u32_e32 v0, vcc, v6, v26
	v_addc_co_u32_e32 v1, vcc, 0, v7, vcc
	s_branch .LBB3_1518
.LBB3_1515:                             ;   in Loop: Header=BB3_1518 Depth=2
	s_or_b64 exec, exec, s[16:17]
	v_readfirstlane_b32 s16, v2
	s_cmp_eq_u32 s16, 0
	s_cbranch_scc1 .LBB3_1517
; %bb.1516:                             ;   in Loop: Header=BB3_1518 Depth=2
	s_sleep 1
	s_cbranch_execnz .LBB3_1518
	s_branch .LBB3_1520
.LBB3_1517:                             ;   in Loop: Header=BB3_3 Depth=1
	s_branch .LBB3_1520
.LBB3_1518:                             ;   Parent Loop BB3_3 Depth=1
                                        ; =>  This Inner Loop Header: Depth=2
	v_mov_b32_e32 v2, 1
	s_and_saveexec_b64 s[16:17], s[4:5]
	s_cbranch_execz .LBB3_1515
; %bb.1519:                             ;   in Loop: Header=BB3_1518 Depth=2
	global_load_dword v2, v[8:9], off offset:20 glc
	s_waitcnt vmcnt(0)
	buffer_wbinvl1_vol
	v_and_b32_e32 v2, 1, v2
	s_branch .LBB3_1515
.LBB3_1520:                             ;   in Loop: Header=BB3_3 Depth=1
	global_load_dwordx2 v[0:1], v[0:1], off
	s_and_saveexec_b64 s[16:17], s[4:5]
	s_cbranch_execz .LBB3_1524
; %bb.1521:                             ;   in Loop: Header=BB3_3 Depth=1
	global_load_dwordx2 v[2:3], v54, s[12:13] offset:40
	global_load_dwordx2 v[13:14], v54, s[12:13] offset:24 glc
	global_load_dwordx2 v[4:5], v54, s[12:13]
	s_waitcnt vmcnt(2)
	v_readfirstlane_b32 s18, v2
	v_readfirstlane_b32 s19, v3
	s_add_u32 s20, s18, 1
	s_addc_u32 s21, s19, 0
	s_add_u32 s4, s20, s14
	s_addc_u32 s5, s21, s15
	s_cmp_eq_u64 s[4:5], 0
	s_cselect_b32 s5, s21, s5
	s_cselect_b32 s4, s20, s4
	s_and_b64 s[14:15], s[4:5], s[18:19]
	s_mul_i32 s15, s15, 24
	s_mul_hi_u32 s18, s14, 24
	s_mul_i32 s14, s14, 24
	s_add_i32 s15, s18, s15
	v_mov_b32_e32 v2, s15
	s_waitcnt vmcnt(0)
	v_add_co_u32_e32 v6, vcc, s14, v4
	v_addc_co_u32_e32 v7, vcc, v5, v2, vcc
	v_mov_b32_e32 v11, s4
	global_store_dwordx2 v[6:7], v[13:14], off
	v_mov_b32_e32 v12, s5
	s_waitcnt vmcnt(0)
	global_atomic_cmpswap_x2 v[4:5], v54, v[11:14], s[12:13] offset:24 glc
	s_waitcnt vmcnt(0)
	v_cmp_ne_u64_e32 vcc, v[4:5], v[13:14]
	s_and_b64 exec, exec, vcc
	s_cbranch_execz .LBB3_1524
; %bb.1522:                             ;   in Loop: Header=BB3_3 Depth=1
	s_mov_b64 s[14:15], 0
.LBB3_1523:                             ;   Parent Loop BB3_3 Depth=1
                                        ; =>  This Inner Loop Header: Depth=2
	s_sleep 1
	global_store_dwordx2 v[6:7], v[4:5], off
	v_mov_b32_e32 v2, s4
	v_mov_b32_e32 v3, s5
	s_waitcnt vmcnt(0)
	global_atomic_cmpswap_x2 v[2:3], v54, v[2:5], s[12:13] offset:24 glc
	s_waitcnt vmcnt(0)
	v_cmp_eq_u64_e32 vcc, v[2:3], v[4:5]
	v_mov_b32_e32 v5, v3
	s_or_b64 s[14:15], vcc, s[14:15]
	v_mov_b32_e32 v4, v2
	s_andn2_b64 exec, exec, s[14:15]
	s_cbranch_execnz .LBB3_1523
.LBB3_1524:                             ;   in Loop: Header=BB3_3 Depth=1
	s_or_b64 exec, exec, s[16:17]
	v_readfirstlane_b32 s4, v47
	v_mov_b32_e32 v2, 0
	v_mov_b32_e32 v3, 0
	v_cmp_eq_u32_e64 s[4:5], s4, v47
	s_and_saveexec_b64 s[14:15], s[4:5]
	s_cbranch_execz .LBB3_1530
; %bb.1525:                             ;   in Loop: Header=BB3_3 Depth=1
	global_load_dwordx2 v[4:5], v54, s[12:13] offset:24 glc
	s_waitcnt vmcnt(0)
	buffer_wbinvl1_vol
	global_load_dwordx2 v[2:3], v54, s[12:13] offset:40
	global_load_dwordx2 v[6:7], v54, s[12:13]
	s_waitcnt vmcnt(1)
	v_and_b32_e32 v2, v2, v4
	v_and_b32_e32 v3, v3, v5
	v_mul_lo_u32 v3, v3, 24
	v_mul_hi_u32 v8, v2, 24
	v_mul_lo_u32 v2, v2, 24
	v_add_u32_e32 v3, v8, v3
	s_waitcnt vmcnt(0)
	v_add_co_u32_e32 v2, vcc, v6, v2
	v_addc_co_u32_e32 v3, vcc, v7, v3, vcc
	global_load_dwordx2 v[2:3], v[2:3], off glc
	s_waitcnt vmcnt(0)
	global_atomic_cmpswap_x2 v[2:3], v54, v[2:5], s[12:13] offset:24 glc
	s_waitcnt vmcnt(0)
	buffer_wbinvl1_vol
	v_cmp_ne_u64_e32 vcc, v[2:3], v[4:5]
	s_and_saveexec_b64 s[16:17], vcc
	s_cbranch_execz .LBB3_1529
; %bb.1526:                             ;   in Loop: Header=BB3_3 Depth=1
	s_mov_b64 s[18:19], 0
.LBB3_1527:                             ;   Parent Loop BB3_3 Depth=1
                                        ; =>  This Inner Loop Header: Depth=2
	s_sleep 1
	global_load_dwordx2 v[6:7], v54, s[12:13] offset:40
	global_load_dwordx2 v[8:9], v54, s[12:13]
	v_mov_b32_e32 v5, v3
	v_mov_b32_e32 v4, v2
	s_waitcnt vmcnt(1)
	v_and_b32_e32 v2, v6, v4
	s_waitcnt vmcnt(0)
	v_mad_u64_u32 v[2:3], s[20:21], v2, 24, v[8:9]
	v_and_b32_e32 v6, v7, v5
	v_mad_u64_u32 v[6:7], s[20:21], v6, 24, v[3:4]
	v_mov_b32_e32 v3, v6
	global_load_dwordx2 v[2:3], v[2:3], off glc
	s_waitcnt vmcnt(0)
	global_atomic_cmpswap_x2 v[2:3], v54, v[2:5], s[12:13] offset:24 glc
	s_waitcnt vmcnt(0)
	buffer_wbinvl1_vol
	v_cmp_eq_u64_e32 vcc, v[2:3], v[4:5]
	s_or_b64 s[18:19], vcc, s[18:19]
	s_andn2_b64 exec, exec, s[18:19]
	s_cbranch_execnz .LBB3_1527
; %bb.1528:                             ;   in Loop: Header=BB3_3 Depth=1
	s_or_b64 exec, exec, s[18:19]
.LBB3_1529:                             ;   in Loop: Header=BB3_3 Depth=1
	s_or_b64 exec, exec, s[16:17]
.LBB3_1530:                             ;   in Loop: Header=BB3_3 Depth=1
	s_or_b64 exec, exec, s[14:15]
	global_load_dwordx2 v[8:9], v54, s[12:13] offset:40
	global_load_dwordx4 v[4:7], v54, s[12:13]
	v_readfirstlane_b32 s15, v3
	v_readfirstlane_b32 s14, v2
	s_mov_b64 s[16:17], exec
	s_waitcnt vmcnt(1)
	v_readfirstlane_b32 s18, v8
	v_readfirstlane_b32 s19, v9
	s_and_b64 s[18:19], s[18:19], s[14:15]
	s_mul_i32 s20, s19, 24
	s_mul_hi_u32 s21, s18, 24
	s_mul_i32 s22, s18, 24
	s_add_i32 s20, s21, s20
	v_mov_b32_e32 v2, s20
	s_waitcnt vmcnt(0)
	v_add_co_u32_e32 v8, vcc, s22, v4
	v_addc_co_u32_e32 v9, vcc, v5, v2, vcc
	s_and_saveexec_b64 s[20:21], s[4:5]
	s_cbranch_execz .LBB3_1532
; %bb.1531:                             ;   in Loop: Header=BB3_3 Depth=1
	v_mov_b32_e32 v38, s17
	v_mov_b32_e32 v37, s16
	global_store_dwordx4 v[8:9], v[37:40], off offset:8
.LBB3_1532:                             ;   in Loop: Header=BB3_3 Depth=1
	s_or_b64 exec, exec, s[20:21]
	s_lshl_b64 s[16:17], s[18:19], 12
	v_mov_b32_e32 v2, s17
	v_add_co_u32_e32 v6, vcc, s16, v6
	v_addc_co_u32_e32 v7, vcc, v7, v2, vcc
	v_and_or_b32 v0, v0, s49, 34
	v_mov_b32_e32 v2, v10
	v_mov_b32_e32 v3, v54
	v_readfirstlane_b32 s16, v6
	v_readfirstlane_b32 s17, v7
	s_mov_b32 s41, s40
	s_mov_b32 s42, s40
	;; [unrolled: 1-line block ×3, first 2 shown]
	s_nop 1
	global_store_dwordx4 v26, v[0:3], s[16:17]
	s_nop 0
	v_mov_b32_e32 v0, s40
	v_mov_b32_e32 v1, s41
	;; [unrolled: 1-line block ×4, first 2 shown]
	global_store_dwordx4 v26, v[0:3], s[16:17] offset:16
	global_store_dwordx4 v26, v[0:3], s[16:17] offset:32
	;; [unrolled: 1-line block ×3, first 2 shown]
	s_and_saveexec_b64 s[16:17], s[4:5]
	s_cbranch_execz .LBB3_1540
; %bb.1533:                             ;   in Loop: Header=BB3_3 Depth=1
	global_load_dwordx2 v[12:13], v54, s[12:13] offset:32 glc
	global_load_dwordx2 v[0:1], v54, s[12:13] offset:40
	v_mov_b32_e32 v10, s14
	v_mov_b32_e32 v11, s15
	s_waitcnt vmcnt(0)
	v_readfirstlane_b32 s18, v0
	v_readfirstlane_b32 s19, v1
	s_and_b64 s[18:19], s[18:19], s[14:15]
	s_mul_i32 s19, s19, 24
	s_mul_hi_u32 s20, s18, 24
	s_mul_i32 s18, s18, 24
	s_add_i32 s19, s20, s19
	v_mov_b32_e32 v0, s19
	v_add_co_u32_e32 v4, vcc, s18, v4
	v_addc_co_u32_e32 v5, vcc, v5, v0, vcc
	global_store_dwordx2 v[4:5], v[12:13], off
	s_waitcnt vmcnt(0)
	global_atomic_cmpswap_x2 v[2:3], v54, v[10:13], s[12:13] offset:32 glc
	s_waitcnt vmcnt(0)
	v_cmp_ne_u64_e32 vcc, v[2:3], v[12:13]
	s_and_saveexec_b64 s[18:19], vcc
	s_cbranch_execz .LBB3_1536
; %bb.1534:                             ;   in Loop: Header=BB3_3 Depth=1
	s_mov_b64 s[20:21], 0
.LBB3_1535:                             ;   Parent Loop BB3_3 Depth=1
                                        ; =>  This Inner Loop Header: Depth=2
	s_sleep 1
	global_store_dwordx2 v[4:5], v[2:3], off
	v_mov_b32_e32 v0, s14
	v_mov_b32_e32 v1, s15
	s_waitcnt vmcnt(0)
	global_atomic_cmpswap_x2 v[0:1], v54, v[0:3], s[12:13] offset:32 glc
	s_waitcnt vmcnt(0)
	v_cmp_eq_u64_e32 vcc, v[0:1], v[2:3]
	v_mov_b32_e32 v3, v1
	s_or_b64 s[20:21], vcc, s[20:21]
	v_mov_b32_e32 v2, v0
	s_andn2_b64 exec, exec, s[20:21]
	s_cbranch_execnz .LBB3_1535
.LBB3_1536:                             ;   in Loop: Header=BB3_3 Depth=1
	s_or_b64 exec, exec, s[18:19]
	global_load_dwordx2 v[0:1], v54, s[12:13] offset:16
	s_mov_b64 s[20:21], exec
	v_mbcnt_lo_u32_b32 v2, s20, 0
	v_mbcnt_hi_u32_b32 v2, s21, v2
	v_cmp_eq_u32_e32 vcc, 0, v2
	s_and_saveexec_b64 s[18:19], vcc
	s_cbranch_execz .LBB3_1538
; %bb.1537:                             ;   in Loop: Header=BB3_3 Depth=1
	s_bcnt1_i32_b64 s20, s[20:21]
	v_mov_b32_e32 v53, s20
	s_waitcnt vmcnt(0)
	global_atomic_add_x2 v[0:1], v[53:54], off offset:8
.LBB3_1538:                             ;   in Loop: Header=BB3_3 Depth=1
	s_or_b64 exec, exec, s[18:19]
	s_waitcnt vmcnt(0)
	global_load_dwordx2 v[2:3], v[0:1], off offset:16
	s_waitcnt vmcnt(0)
	v_cmp_eq_u64_e32 vcc, 0, v[2:3]
	s_cbranch_vccnz .LBB3_1540
; %bb.1539:                             ;   in Loop: Header=BB3_3 Depth=1
	global_load_dword v53, v[0:1], off offset:24
	s_waitcnt vmcnt(0)
	v_readfirstlane_b32 s18, v53
	s_and_b32 m0, s18, 0xffffff
	global_store_dwordx2 v[2:3], v[53:54], off
	s_sendmsg sendmsg(MSG_INTERRUPT)
.LBB3_1540:                             ;   in Loop: Header=BB3_3 Depth=1
	s_or_b64 exec, exec, s[16:17]
	v_add_co_u32_e32 v0, vcc, v6, v26
	v_addc_co_u32_e32 v1, vcc, 0, v7, vcc
	s_branch .LBB3_1544
.LBB3_1541:                             ;   in Loop: Header=BB3_1544 Depth=2
	s_or_b64 exec, exec, s[16:17]
	v_readfirstlane_b32 s16, v2
	s_cmp_eq_u32 s16, 0
	s_cbranch_scc1 .LBB3_1543
; %bb.1542:                             ;   in Loop: Header=BB3_1544 Depth=2
	s_sleep 1
	s_cbranch_execnz .LBB3_1544
	s_branch .LBB3_1546
.LBB3_1543:                             ;   in Loop: Header=BB3_3 Depth=1
	s_branch .LBB3_1546
.LBB3_1544:                             ;   Parent Loop BB3_3 Depth=1
                                        ; =>  This Inner Loop Header: Depth=2
	v_mov_b32_e32 v2, 1
	s_and_saveexec_b64 s[16:17], s[4:5]
	s_cbranch_execz .LBB3_1541
; %bb.1545:                             ;   in Loop: Header=BB3_1544 Depth=2
	global_load_dword v2, v[8:9], off offset:20 glc
	s_waitcnt vmcnt(0)
	buffer_wbinvl1_vol
	v_and_b32_e32 v2, 1, v2
	s_branch .LBB3_1541
.LBB3_1546:                             ;   in Loop: Header=BB3_3 Depth=1
	global_load_dwordx2 v[0:1], v[0:1], off
	s_and_saveexec_b64 s[16:17], s[4:5]
	s_cbranch_execz .LBB3_1550
; %bb.1547:                             ;   in Loop: Header=BB3_3 Depth=1
	global_load_dwordx2 v[1:2], v54, s[12:13] offset:40
	global_load_dwordx2 v[9:10], v54, s[12:13] offset:24 glc
	global_load_dwordx2 v[3:4], v54, s[12:13]
	s_waitcnt vmcnt(2)
	v_readfirstlane_b32 s18, v1
	v_readfirstlane_b32 s19, v2
	s_add_u32 s20, s18, 1
	s_addc_u32 s21, s19, 0
	s_add_u32 s4, s20, s14
	s_addc_u32 s5, s21, s15
	s_cmp_eq_u64 s[4:5], 0
	s_cselect_b32 s5, s21, s5
	s_cselect_b32 s4, s20, s4
	s_and_b64 s[14:15], s[4:5], s[18:19]
	s_mul_i32 s15, s15, 24
	s_mul_hi_u32 s18, s14, 24
	s_mul_i32 s14, s14, 24
	s_add_i32 s15, s18, s15
	v_mov_b32_e32 v1, s15
	s_waitcnt vmcnt(0)
	v_add_co_u32_e32 v5, vcc, s14, v3
	v_addc_co_u32_e32 v6, vcc, v4, v1, vcc
	v_mov_b32_e32 v7, s4
	global_store_dwordx2 v[5:6], v[9:10], off
	v_mov_b32_e32 v8, s5
	s_waitcnt vmcnt(0)
	global_atomic_cmpswap_x2 v[3:4], v54, v[7:10], s[12:13] offset:24 glc
	s_waitcnt vmcnt(0)
	v_cmp_ne_u64_e32 vcc, v[3:4], v[9:10]
	s_and_b64 exec, exec, vcc
	s_cbranch_execz .LBB3_1550
; %bb.1548:                             ;   in Loop: Header=BB3_3 Depth=1
	s_mov_b64 s[14:15], 0
.LBB3_1549:                             ;   Parent Loop BB3_3 Depth=1
                                        ; =>  This Inner Loop Header: Depth=2
	s_sleep 1
	global_store_dwordx2 v[5:6], v[3:4], off
	v_mov_b32_e32 v1, s4
	v_mov_b32_e32 v2, s5
	s_waitcnt vmcnt(0)
	global_atomic_cmpswap_x2 v[1:2], v54, v[1:4], s[12:13] offset:24 glc
	s_waitcnt vmcnt(0)
	v_cmp_eq_u64_e32 vcc, v[1:2], v[3:4]
	v_mov_b32_e32 v4, v2
	s_or_b64 s[14:15], vcc, s[14:15]
	v_mov_b32_e32 v3, v1
	s_andn2_b64 exec, exec, s[14:15]
	s_cbranch_execnz .LBB3_1549
.LBB3_1550:                             ;   in Loop: Header=BB3_3 Depth=1
	s_or_b64 exec, exec, s[16:17]
.LBB3_1551:                             ;   in Loop: Header=BB3_3 Depth=1
	s_or_b64 exec, exec, s[10:11]
.LBB3_1552:                             ;   in Loop: Header=BB3_3 Depth=1
	s_or_b64 exec, exec, s[8:9]
.LBB3_1553:                             ;   in Loop: Header=BB3_3 Depth=1
	s_or_b64 exec, exec, s[6:7]
	s_waitcnt vmcnt(0)
	v_add_u32_e32 v38, v24, v0
	s_mov_b32 s25, 0
	s_getpc_b64 s[4:5]
	s_add_u32 s4, s4, .str.13@rel32@lo+4
	s_addc_u32 s5, s5, .str.13@rel32@hi+12
.LBB3_1554:                             ;   Parent Loop BB3_3 Depth=1
                                        ; =>  This Loop Header: Depth=2
                                        ;       Child Loop BB3_1580 Depth 3
	v_sub_co_u32_e64 v0, s[6:7], s25, 6
	s_and_b64 s[6:7], s[6:7], exec
	v_readfirstlane_b32 s6, v0
	s_cselect_b32 s41, s25, s6
	s_cmp_lt_i32 s41, 3
	s_cbranch_scc1 .LBB3_1560
; %bb.1555:                             ;   in Loop: Header=BB3_1554 Depth=2
	s_cmp_gt_i32 s41, 3
	s_cbranch_scc0 .LBB3_1561
; %bb.1556:                             ;   in Loop: Header=BB3_1554 Depth=2
	s_cmp_gt_i32 s41, 4
	s_cbranch_scc0 .LBB3_1562
; %bb.1557:                             ;   in Loop: Header=BB3_1554 Depth=2
	s_cmp_eq_u32 s41, 5
	s_mov_b64 s[6:7], -1
	s_cbranch_scc0 .LBB3_1559
; %bb.1558:                             ;   in Loop: Header=BB3_1554 Depth=2
	s_mov_b64 s[6:7], 0
.LBB3_1559:                             ;   in Loop: Header=BB3_1554 Depth=2
	s_mov_b64 s[8:9], 0
	s_branch .LBB3_1563
.LBB3_1560:                             ;   in Loop: Header=BB3_1554 Depth=2
	s_mov_b64 s[6:7], 0
                                        ; implicit-def: $sgpr76_sgpr77
	s_cbranch_execnz .LBB3_1568
	s_branch .LBB3_1576
.LBB3_1561:                             ;   in Loop: Header=BB3_1554 Depth=2
	s_mov_b64 s[6:7], 0
                                        ; implicit-def: $sgpr76_sgpr77
	s_cbranch_execnz .LBB3_1566
	s_branch .LBB3_1567
.LBB3_1562:                             ;   in Loop: Header=BB3_1554 Depth=2
	s_mov_b64 s[8:9], -1
	s_mov_b64 s[6:7], 0
.LBB3_1563:                             ;   in Loop: Header=BB3_1554 Depth=2
	s_getpc_b64 s[76:77]
	s_add_u32 s76, s76, .str.11@rel32@lo+4
	s_addc_u32 s77, s77, .str.11@rel32@hi+12
	s_and_b64 vcc, exec, s[8:9]
	s_cbranch_vccz .LBB3_1565
; %bb.1564:                             ;   in Loop: Header=BB3_1554 Depth=2
	s_getpc_b64 s[76:77]
	s_add_u32 s76, s76, .str.10@rel32@lo+4
	s_addc_u32 s77, s77, .str.10@rel32@hi+12
.LBB3_1565:                             ;   in Loop: Header=BB3_1554 Depth=2
	s_branch .LBB3_1567
.LBB3_1566:                             ;   in Loop: Header=BB3_1554 Depth=2
	s_getpc_b64 s[76:77]
	s_add_u32 s76, s76, .str.9@rel32@lo+4
	s_addc_u32 s77, s77, .str.9@rel32@hi+12
.LBB3_1567:                             ;   in Loop: Header=BB3_1554 Depth=2
	s_branch .LBB3_1576
.LBB3_1568:                             ;   in Loop: Header=BB3_1554 Depth=2
	s_cmp_gt_i32 s41, 0
	s_mov_b64 s[8:9], -1
                                        ; implicit-def: $sgpr76_sgpr77
	s_cbranch_scc0 .LBB3_1574
; %bb.1569:                             ;   in Loop: Header=BB3_1554 Depth=2
	s_cmp_gt_i32 s41, 1
	s_cbranch_scc0 .LBB3_1571
; %bb.1570:                             ;   in Loop: Header=BB3_1554 Depth=2
	s_mov_b64 s[8:9], 0
.LBB3_1571:                             ;   in Loop: Header=BB3_1554 Depth=2
	s_andn2_b64 vcc, exec, s[8:9]
	s_getpc_b64 s[76:77]
	s_add_u32 s76, s76, .str.8@rel32@lo+4
	s_addc_u32 s77, s77, .str.8@rel32@hi+12
	s_cbranch_vccnz .LBB3_1573
; %bb.1572:                             ;   in Loop: Header=BB3_1554 Depth=2
	s_getpc_b64 s[76:77]
	s_add_u32 s76, s76, .str.7@rel32@lo+4
	s_addc_u32 s77, s77, .str.7@rel32@hi+12
.LBB3_1573:                             ;   in Loop: Header=BB3_1554 Depth=2
	s_mov_b64 s[8:9], 0
.LBB3_1574:                             ;   in Loop: Header=BB3_1554 Depth=2
	s_andn2_b64 vcc, exec, s[8:9]
	s_cbranch_vccnz .LBB3_1576
; %bb.1575:                             ;   in Loop: Header=BB3_1554 Depth=2
	s_getpc_b64 s[76:77]
	s_add_u32 s76, s76, .str.6@rel32@lo+4
	s_addc_u32 s77, s77, .str.6@rel32@hi+12
	s_cmp_lg_u32 s41, 0
	s_cselect_b64 s[6:7], -1, 0
.LBB3_1576:                             ;   in Loop: Header=BB3_1554 Depth=2
	s_and_b64 vcc, exec, s[6:7]
	s_cbranch_vccz .LBB3_1578
; %bb.1577:                             ;   in Loop: Header=BB3_1554 Depth=2
	s_mov_b64 s[76:77], s[4:5]
.LBB3_1578:                             ;   in Loop: Header=BB3_1554 Depth=2
	s_getpc_b64 s[4:5]
	s_add_u32 s4, s4, __ockl_printf_begin@rel32@lo+4
	s_addc_u32 s5, s5, __ockl_printf_begin@rel32@hi+12
	s_mov_b64 s[8:9], s[26:27]
	s_swappc_b64 s[30:31], s[4:5]
	s_getpc_b64 s[4:5]
	s_add_u32 s4, s4, .str.12@rel32@lo+4
	s_addc_u32 s5, s5, .str.12@rel32@hi+12
	s_getpc_b64 s[6:7]
	s_add_u32 s6, s6, __ockl_printf_append_string_n@rel32@lo+4
	s_addc_u32 s7, s7, __ockl_printf_append_string_n@rel32@hi+12
	s_mov_b64 s[8:9], s[26:27]
	v_mov_b32_e32 v2, s4
	v_mov_b32_e32 v3, s5
	;; [unrolled: 1-line block ×4, first 2 shown]
	s_swappc_b64 s[30:31], s[6:7]
	s_getpc_b64 s[4:5]
	s_add_u32 s4, s4, __ockl_printf_append_args@rel32@lo+4
	s_addc_u32 s5, s5, __ockl_printf_append_args@rel32@hi+12
	s_mov_b64 s[8:9], s[26:27]
	v_mov_b32_e32 v2, v50
	v_mov_b32_e32 v3, v54
	;; [unrolled: 1-line block ×3, first 2 shown]
	s_swappc_b64 s[30:31], s[4:5]
	s_cmp_eq_u64 s[76:77], 0
	s_mov_b64 s[4:5], 0
	s_cbranch_scc1 .LBB3_1582
; %bb.1579:                             ;   in Loop: Header=BB3_1554 Depth=2
	s_add_u32 s4, s76, -1
	s_addc_u32 s5, s77, -1
.LBB3_1580:                             ;   Parent Loop BB3_3 Depth=1
                                        ;     Parent Loop BB3_1554 Depth=2
                                        ; =>    This Inner Loop Header: Depth=3
	global_load_ubyte v2, v54, s[4:5] offset:1
	s_add_u32 s6, s4, 1
	s_addc_u32 s7, s5, 0
	s_mov_b64 s[4:5], s[6:7]
	s_waitcnt vmcnt(0)
	v_cmp_ne_u32_e32 vcc, 0, v2
	s_cbranch_vccnz .LBB3_1580
; %bb.1581:                             ;   in Loop: Header=BB3_1554 Depth=2
	s_sub_u32 s4, s6, s76
	s_subb_u32 s5, s7, s77
	s_add_u32 s4, s4, 1
	s_addc_u32 s5, s5, 0
.LBB3_1582:                             ;   in Loop: Header=BB3_1554 Depth=2
	s_getpc_b64 s[74:75]
	s_add_u32 s74, s74, __ockl_printf_append_string_n@rel32@lo+4
	s_addc_u32 s75, s75, __ockl_printf_append_string_n@rel32@hi+12
	s_mov_b64 s[8:9], s[26:27]
	v_mov_b32_e32 v2, s76
	v_mov_b32_e32 v3, s77
	;; [unrolled: 1-line block ×4, first 2 shown]
	s_swappc_b64 s[30:31], s[74:75]
	s_getpc_b64 s[42:43]
	s_add_u32 s42, s42, __ockl_printf_append_args@rel32@lo+4
	s_addc_u32 s43, s43, __ockl_printf_append_args@rel32@hi+12
	s_mov_b64 s[8:9], s[26:27]
	v_mov_b32_e32 v2, s41
	v_mov_b32_e32 v3, v54
	;; [unrolled: 1-line block ×3, first 2 shown]
	s_swappc_b64 s[30:31], s[42:43]
	s_add_i32 s25, s25, 1
	s_cmp_eq_u32 s25, 12
	v_add_u32_e32 v38, v38, v0
	s_cbranch_scc1 .LBB3_2
; %bb.1583:                             ;   in Loop: Header=BB3_1554 Depth=2
	s_mov_b64 s[4:5], s[76:77]
	s_branch .LBB3_1554
.LBB3_1584:
	s_or_b64 exec, exec, s[28:29]
	buffer_load_dword v56, off, s[0:3], s33 ; 4-byte Folded Reload
	buffer_load_dword v47, off, s[0:3], s33 offset:4 ; 4-byte Folded Reload
	buffer_load_dword v46, off, s[0:3], s33 offset:8 ; 4-byte Folded Reload
	;; [unrolled: 1-line block ×8, first 2 shown]
	v_readlane_b32 s30, v57, 8
	v_readlane_b32 s31, v57, 9
	;; [unrolled: 1-line block ×10, first 2 shown]
	s_mov_b32 s32, s33
	v_readlane_b32 s4, v57, 10
	s_or_saveexec_b64 s[6:7], -1
	buffer_load_dword v57, off, s[0:3], s33 offset:36 ; 4-byte Folded Reload
	s_mov_b64 exec, s[6:7]
	s_mov_b32 s33, s4
	s_waitcnt vmcnt(0)
	s_setpc_b64 s[30:31]
.Lfunc_end3:
	.size	_ZN19hipPrintfStressTest10startPrintEjjPjS0_, .Lfunc_end3-_ZN19hipPrintfStressTest10startPrintEjjPjS0_
                                        ; -- End function
	.set .L_ZN19hipPrintfStressTest10startPrintEjjPjS0_.num_vgpr, max(58, .L__ockl_printf_begin.num_vgpr, .L__ockl_printf_append_string_n.num_vgpr, .L__ockl_printf_append_args.num_vgpr)
	.set .L_ZN19hipPrintfStressTest10startPrintEjjPjS0_.num_agpr, max(0, .L__ockl_printf_begin.num_agpr, .L__ockl_printf_append_string_n.num_agpr, .L__ockl_printf_append_args.num_agpr)
	.set .L_ZN19hipPrintfStressTest10startPrintEjjPjS0_.numbered_sgpr, max(96, .L__ockl_printf_begin.numbered_sgpr, .L__ockl_printf_append_string_n.numbered_sgpr, .L__ockl_printf_append_args.numbered_sgpr)
	.set .L_ZN19hipPrintfStressTest10startPrintEjjPjS0_.num_named_barrier, max(0, .L__ockl_printf_begin.num_named_barrier, .L__ockl_printf_append_string_n.num_named_barrier, .L__ockl_printf_append_args.num_named_barrier)
	.set .L_ZN19hipPrintfStressTest10startPrintEjjPjS0_.private_seg_size, 48+max(.L__ockl_printf_begin.private_seg_size, .L__ockl_printf_append_string_n.private_seg_size, .L__ockl_printf_append_args.private_seg_size)
	.set .L_ZN19hipPrintfStressTest10startPrintEjjPjS0_.uses_vcc, or(1, .L__ockl_printf_begin.uses_vcc, .L__ockl_printf_append_string_n.uses_vcc, .L__ockl_printf_append_args.uses_vcc)
	.set .L_ZN19hipPrintfStressTest10startPrintEjjPjS0_.uses_flat_scratch, or(0, .L__ockl_printf_begin.uses_flat_scratch, .L__ockl_printf_append_string_n.uses_flat_scratch, .L__ockl_printf_append_args.uses_flat_scratch)
	.set .L_ZN19hipPrintfStressTest10startPrintEjjPjS0_.has_dyn_sized_stack, or(0, .L__ockl_printf_begin.has_dyn_sized_stack, .L__ockl_printf_append_string_n.has_dyn_sized_stack, .L__ockl_printf_append_args.has_dyn_sized_stack)
	.set .L_ZN19hipPrintfStressTest10startPrintEjjPjS0_.has_recursion, or(0, .L__ockl_printf_begin.has_recursion, .L__ockl_printf_append_string_n.has_recursion, .L__ockl_printf_append_args.has_recursion)
	.set .L_ZN19hipPrintfStressTest10startPrintEjjPjS0_.has_indirect_call, or(0, .L__ockl_printf_begin.has_indirect_call, .L__ockl_printf_append_string_n.has_indirect_call, .L__ockl_printf_append_args.has_indirect_call)
	.section	.AMDGPU.csdata,"",@progbits
; Function info:
; codeLenInByte = 61084
; TotalNumSgprs: 100
; NumVgprs: 58
; ScratchSize: 48
; MemoryBound: 0
	.text
	.protected	_ZN19hipPrintfStressTest18kernel_complex_opXEPjS0_j ; -- Begin function _ZN19hipPrintfStressTest18kernel_complex_opXEPjS0_j
	.globl	_ZN19hipPrintfStressTest18kernel_complex_opXEPjS0_j
	.p2align	8
	.type	_ZN19hipPrintfStressTest18kernel_complex_opXEPjS0_j,@function
_ZN19hipPrintfStressTest18kernel_complex_opXEPjS0_j: ; @_ZN19hipPrintfStressTest18kernel_complex_opXEPjS0_j
; %bb.0:
	s_add_u32 s0, s0, s7
	s_load_dword s7, s[4:5], 0x24
	s_load_dwordx4 s[12:15], s[4:5], 0x0
	s_load_dword s10, s[4:5], 0x10
	s_addc_u32 s1, s1, 0
	s_mov_b32 s32, 0
	s_waitcnt lgkmcnt(0)
	s_and_b32 s7, s7, 0xffff
	s_add_u32 s8, s4, 24
	s_mul_i32 s6, s6, s7
	s_addc_u32 s9, s5, 0
	v_add_u32_e32 v0, s6, v0
	s_getpc_b64 s[4:5]
	s_add_u32 s4, s4, _ZN19hipPrintfStressTest10startPrintEjjPjS0_@rel32@lo+4
	s_addc_u32 s5, s5, _ZN19hipPrintfStressTest10startPrintEjjPjS0_@rel32@hi+12
	v_mov_b32_e32 v1, s10
	v_mov_b32_e32 v2, s12
	;; [unrolled: 1-line block ×5, first 2 shown]
	s_swappc_b64 s[30:31], s[4:5]
	s_endpgm
	.section	.rodata,"a",@progbits
	.p2align	6, 0x0
	.amdhsa_kernel _ZN19hipPrintfStressTest18kernel_complex_opXEPjS0_j
		.amdhsa_group_segment_fixed_size 0
		.amdhsa_private_segment_fixed_size 48
		.amdhsa_kernarg_size 280
		.amdhsa_user_sgpr_count 6
		.amdhsa_user_sgpr_private_segment_buffer 1
		.amdhsa_user_sgpr_dispatch_ptr 0
		.amdhsa_user_sgpr_queue_ptr 0
		.amdhsa_user_sgpr_kernarg_segment_ptr 1
		.amdhsa_user_sgpr_dispatch_id 0
		.amdhsa_user_sgpr_flat_scratch_init 0
		.amdhsa_user_sgpr_private_segment_size 0
		.amdhsa_uses_dynamic_stack 0
		.amdhsa_system_sgpr_private_segment_wavefront_offset 1
		.amdhsa_system_sgpr_workgroup_id_x 1
		.amdhsa_system_sgpr_workgroup_id_y 0
		.amdhsa_system_sgpr_workgroup_id_z 0
		.amdhsa_system_sgpr_workgroup_info 0
		.amdhsa_system_vgpr_workitem_id 0
		.amdhsa_next_free_vgpr 58
		.amdhsa_next_free_sgpr 96
		.amdhsa_reserve_vcc 1
		.amdhsa_reserve_flat_scratch 0
		.amdhsa_float_round_mode_32 0
		.amdhsa_float_round_mode_16_64 0
		.amdhsa_float_denorm_mode_32 3
		.amdhsa_float_denorm_mode_16_64 3
		.amdhsa_dx10_clamp 1
		.amdhsa_ieee_mode 1
		.amdhsa_fp16_overflow 0
		.amdhsa_exception_fp_ieee_invalid_op 0
		.amdhsa_exception_fp_denorm_src 0
		.amdhsa_exception_fp_ieee_div_zero 0
		.amdhsa_exception_fp_ieee_overflow 0
		.amdhsa_exception_fp_ieee_underflow 0
		.amdhsa_exception_fp_ieee_inexact 0
		.amdhsa_exception_int_div_zero 0
	.end_amdhsa_kernel
	.text
.Lfunc_end4:
	.size	_ZN19hipPrintfStressTest18kernel_complex_opXEPjS0_j, .Lfunc_end4-_ZN19hipPrintfStressTest18kernel_complex_opXEPjS0_j
                                        ; -- End function
	.set _ZN19hipPrintfStressTest18kernel_complex_opXEPjS0_j.num_vgpr, max(6, .L_ZN19hipPrintfStressTest10startPrintEjjPjS0_.num_vgpr)
	.set _ZN19hipPrintfStressTest18kernel_complex_opXEPjS0_j.num_agpr, max(0, .L_ZN19hipPrintfStressTest10startPrintEjjPjS0_.num_agpr)
	.set _ZN19hipPrintfStressTest18kernel_complex_opXEPjS0_j.numbered_sgpr, max(33, .L_ZN19hipPrintfStressTest10startPrintEjjPjS0_.numbered_sgpr)
	.set _ZN19hipPrintfStressTest18kernel_complex_opXEPjS0_j.num_named_barrier, max(0, .L_ZN19hipPrintfStressTest10startPrintEjjPjS0_.num_named_barrier)
	.set _ZN19hipPrintfStressTest18kernel_complex_opXEPjS0_j.private_seg_size, 0+max(.L_ZN19hipPrintfStressTest10startPrintEjjPjS0_.private_seg_size)
	.set _ZN19hipPrintfStressTest18kernel_complex_opXEPjS0_j.uses_vcc, or(1, .L_ZN19hipPrintfStressTest10startPrintEjjPjS0_.uses_vcc)
	.set _ZN19hipPrintfStressTest18kernel_complex_opXEPjS0_j.uses_flat_scratch, or(0, .L_ZN19hipPrintfStressTest10startPrintEjjPjS0_.uses_flat_scratch)
	.set _ZN19hipPrintfStressTest18kernel_complex_opXEPjS0_j.has_dyn_sized_stack, or(0, .L_ZN19hipPrintfStressTest10startPrintEjjPjS0_.has_dyn_sized_stack)
	.set _ZN19hipPrintfStressTest18kernel_complex_opXEPjS0_j.has_recursion, or(0, .L_ZN19hipPrintfStressTest10startPrintEjjPjS0_.has_recursion)
	.set _ZN19hipPrintfStressTest18kernel_complex_opXEPjS0_j.has_indirect_call, or(0, .L_ZN19hipPrintfStressTest10startPrintEjjPjS0_.has_indirect_call)
	.section	.AMDGPU.csdata,"",@progbits
; Kernel info:
; codeLenInByte = 112
; TotalNumSgprs: 100
; NumVgprs: 58
; ScratchSize: 48
; MemoryBound: 0
; FloatMode: 240
; IeeeMode: 1
; LDSByteSize: 0 bytes/workgroup (compile time only)
; SGPRBlocks: 12
; VGPRBlocks: 14
; NumSGPRsForWavesPerEU: 100
; NumVGPRsForWavesPerEU: 58
; Occupancy: 4
; WaveLimiterHint : 1
; COMPUTE_PGM_RSRC2:SCRATCH_EN: 1
; COMPUTE_PGM_RSRC2:USER_SGPR: 6
; COMPUTE_PGM_RSRC2:TRAP_HANDLER: 0
; COMPUTE_PGM_RSRC2:TGID_X_EN: 1
; COMPUTE_PGM_RSRC2:TGID_Y_EN: 0
; COMPUTE_PGM_RSRC2:TGID_Z_EN: 0
; COMPUTE_PGM_RSRC2:TIDIG_COMP_CNT: 0
	.text
	.protected	_ZN19hipPrintfStressTest18kernel_complex_opYEPjS0_j ; -- Begin function _ZN19hipPrintfStressTest18kernel_complex_opYEPjS0_j
	.globl	_ZN19hipPrintfStressTest18kernel_complex_opYEPjS0_j
	.p2align	8
	.type	_ZN19hipPrintfStressTest18kernel_complex_opYEPjS0_j,@function
_ZN19hipPrintfStressTest18kernel_complex_opYEPjS0_j: ; @_ZN19hipPrintfStressTest18kernel_complex_opYEPjS0_j
; %bb.0:
	s_load_dword s6, s[4:5], 0x24
	s_load_dwordx4 s[12:15], s[4:5], 0x0
	s_load_dword s10, s[4:5], 0x10
	s_add_u32 s0, s0, s8
	s_addc_u32 s1, s1, 0
	s_waitcnt lgkmcnt(0)
	s_lshr_b32 s6, s6, 16
	s_add_u32 s8, s4, 24
	s_mul_i32 s7, s7, s6
	s_addc_u32 s9, s5, 0
	v_add_u32_e32 v0, s7, v1
	s_getpc_b64 s[4:5]
	s_add_u32 s4, s4, _ZN19hipPrintfStressTest10startPrintEjjPjS0_@rel32@lo+4
	s_addc_u32 s5, s5, _ZN19hipPrintfStressTest10startPrintEjjPjS0_@rel32@hi+12
	v_mov_b32_e32 v1, s10
	v_mov_b32_e32 v2, s12
	;; [unrolled: 1-line block ×5, first 2 shown]
	s_mov_b32 s32, 0
	s_swappc_b64 s[30:31], s[4:5]
	s_endpgm
	.section	.rodata,"a",@progbits
	.p2align	6, 0x0
	.amdhsa_kernel _ZN19hipPrintfStressTest18kernel_complex_opYEPjS0_j
		.amdhsa_group_segment_fixed_size 0
		.amdhsa_private_segment_fixed_size 48
		.amdhsa_kernarg_size 280
		.amdhsa_user_sgpr_count 6
		.amdhsa_user_sgpr_private_segment_buffer 1
		.amdhsa_user_sgpr_dispatch_ptr 0
		.amdhsa_user_sgpr_queue_ptr 0
		.amdhsa_user_sgpr_kernarg_segment_ptr 1
		.amdhsa_user_sgpr_dispatch_id 0
		.amdhsa_user_sgpr_flat_scratch_init 0
		.amdhsa_user_sgpr_private_segment_size 0
		.amdhsa_uses_dynamic_stack 0
		.amdhsa_system_sgpr_private_segment_wavefront_offset 1
		.amdhsa_system_sgpr_workgroup_id_x 1
		.amdhsa_system_sgpr_workgroup_id_y 1
		.amdhsa_system_sgpr_workgroup_id_z 0
		.amdhsa_system_sgpr_workgroup_info 0
		.amdhsa_system_vgpr_workitem_id 1
		.amdhsa_next_free_vgpr 58
		.amdhsa_next_free_sgpr 96
		.amdhsa_reserve_vcc 1
		.amdhsa_reserve_flat_scratch 0
		.amdhsa_float_round_mode_32 0
		.amdhsa_float_round_mode_16_64 0
		.amdhsa_float_denorm_mode_32 3
		.amdhsa_float_denorm_mode_16_64 3
		.amdhsa_dx10_clamp 1
		.amdhsa_ieee_mode 1
		.amdhsa_fp16_overflow 0
		.amdhsa_exception_fp_ieee_invalid_op 0
		.amdhsa_exception_fp_denorm_src 0
		.amdhsa_exception_fp_ieee_div_zero 0
		.amdhsa_exception_fp_ieee_overflow 0
		.amdhsa_exception_fp_ieee_underflow 0
		.amdhsa_exception_fp_ieee_inexact 0
		.amdhsa_exception_int_div_zero 0
	.end_amdhsa_kernel
	.text
.Lfunc_end5:
	.size	_ZN19hipPrintfStressTest18kernel_complex_opYEPjS0_j, .Lfunc_end5-_ZN19hipPrintfStressTest18kernel_complex_opYEPjS0_j
                                        ; -- End function
	.set _ZN19hipPrintfStressTest18kernel_complex_opYEPjS0_j.num_vgpr, max(6, .L_ZN19hipPrintfStressTest10startPrintEjjPjS0_.num_vgpr)
	.set _ZN19hipPrintfStressTest18kernel_complex_opYEPjS0_j.num_agpr, max(0, .L_ZN19hipPrintfStressTest10startPrintEjjPjS0_.num_agpr)
	.set _ZN19hipPrintfStressTest18kernel_complex_opYEPjS0_j.numbered_sgpr, max(33, .L_ZN19hipPrintfStressTest10startPrintEjjPjS0_.numbered_sgpr)
	.set _ZN19hipPrintfStressTest18kernel_complex_opYEPjS0_j.num_named_barrier, max(0, .L_ZN19hipPrintfStressTest10startPrintEjjPjS0_.num_named_barrier)
	.set _ZN19hipPrintfStressTest18kernel_complex_opYEPjS0_j.private_seg_size, 0+max(.L_ZN19hipPrintfStressTest10startPrintEjjPjS0_.private_seg_size)
	.set _ZN19hipPrintfStressTest18kernel_complex_opYEPjS0_j.uses_vcc, or(1, .L_ZN19hipPrintfStressTest10startPrintEjjPjS0_.uses_vcc)
	.set _ZN19hipPrintfStressTest18kernel_complex_opYEPjS0_j.uses_flat_scratch, or(0, .L_ZN19hipPrintfStressTest10startPrintEjjPjS0_.uses_flat_scratch)
	.set _ZN19hipPrintfStressTest18kernel_complex_opYEPjS0_j.has_dyn_sized_stack, or(0, .L_ZN19hipPrintfStressTest10startPrintEjjPjS0_.has_dyn_sized_stack)
	.set _ZN19hipPrintfStressTest18kernel_complex_opYEPjS0_j.has_recursion, or(0, .L_ZN19hipPrintfStressTest10startPrintEjjPjS0_.has_recursion)
	.set _ZN19hipPrintfStressTest18kernel_complex_opYEPjS0_j.has_indirect_call, or(0, .L_ZN19hipPrintfStressTest10startPrintEjjPjS0_.has_indirect_call)
	.section	.AMDGPU.csdata,"",@progbits
; Kernel info:
; codeLenInByte = 108
; TotalNumSgprs: 100
; NumVgprs: 58
; ScratchSize: 48
; MemoryBound: 0
; FloatMode: 240
; IeeeMode: 1
; LDSByteSize: 0 bytes/workgroup (compile time only)
; SGPRBlocks: 12
; VGPRBlocks: 14
; NumSGPRsForWavesPerEU: 100
; NumVGPRsForWavesPerEU: 58
; Occupancy: 4
; WaveLimiterHint : 1
; COMPUTE_PGM_RSRC2:SCRATCH_EN: 1
; COMPUTE_PGM_RSRC2:USER_SGPR: 6
; COMPUTE_PGM_RSRC2:TRAP_HANDLER: 0
; COMPUTE_PGM_RSRC2:TGID_X_EN: 1
; COMPUTE_PGM_RSRC2:TGID_Y_EN: 1
; COMPUTE_PGM_RSRC2:TGID_Z_EN: 0
; COMPUTE_PGM_RSRC2:TIDIG_COMP_CNT: 1
	.text
	.protected	_ZN19hipPrintfStressTest18kernel_complex_opZEPjS0_j ; -- Begin function _ZN19hipPrintfStressTest18kernel_complex_opZEPjS0_j
	.globl	_ZN19hipPrintfStressTest18kernel_complex_opZEPjS0_j
	.p2align	8
	.type	_ZN19hipPrintfStressTest18kernel_complex_opZEPjS0_j,@function
_ZN19hipPrintfStressTest18kernel_complex_opZEPjS0_j: ; @_ZN19hipPrintfStressTest18kernel_complex_opZEPjS0_j
; %bb.0:
	s_load_dword s6, s[4:5], 0x28
	s_load_dwordx4 s[12:15], s[4:5], 0x0
	s_load_dword s10, s[4:5], 0x10
	s_add_u32 s0, s0, s8
	s_addc_u32 s1, s1, 0
	s_waitcnt lgkmcnt(0)
	s_and_b32 s6, s6, 0xffff
	s_add_u32 s8, s4, 24
	s_mul_i32 s7, s7, s6
	s_addc_u32 s9, s5, 0
	v_add_u32_e32 v0, s7, v2
	s_getpc_b64 s[4:5]
	s_add_u32 s4, s4, _ZN19hipPrintfStressTest10startPrintEjjPjS0_@rel32@lo+4
	s_addc_u32 s5, s5, _ZN19hipPrintfStressTest10startPrintEjjPjS0_@rel32@hi+12
	v_mov_b32_e32 v1, s10
	v_mov_b32_e32 v2, s12
	;; [unrolled: 1-line block ×5, first 2 shown]
	s_mov_b32 s32, 0
	s_swappc_b64 s[30:31], s[4:5]
	s_endpgm
	.section	.rodata,"a",@progbits
	.p2align	6, 0x0
	.amdhsa_kernel _ZN19hipPrintfStressTest18kernel_complex_opZEPjS0_j
		.amdhsa_group_segment_fixed_size 0
		.amdhsa_private_segment_fixed_size 48
		.amdhsa_kernarg_size 280
		.amdhsa_user_sgpr_count 6
		.amdhsa_user_sgpr_private_segment_buffer 1
		.amdhsa_user_sgpr_dispatch_ptr 0
		.amdhsa_user_sgpr_queue_ptr 0
		.amdhsa_user_sgpr_kernarg_segment_ptr 1
		.amdhsa_user_sgpr_dispatch_id 0
		.amdhsa_user_sgpr_flat_scratch_init 0
		.amdhsa_user_sgpr_private_segment_size 0
		.amdhsa_uses_dynamic_stack 0
		.amdhsa_system_sgpr_private_segment_wavefront_offset 1
		.amdhsa_system_sgpr_workgroup_id_x 1
		.amdhsa_system_sgpr_workgroup_id_y 0
		.amdhsa_system_sgpr_workgroup_id_z 1
		.amdhsa_system_sgpr_workgroup_info 0
		.amdhsa_system_vgpr_workitem_id 2
		.amdhsa_next_free_vgpr 58
		.amdhsa_next_free_sgpr 96
		.amdhsa_reserve_vcc 1
		.amdhsa_reserve_flat_scratch 0
		.amdhsa_float_round_mode_32 0
		.amdhsa_float_round_mode_16_64 0
		.amdhsa_float_denorm_mode_32 3
		.amdhsa_float_denorm_mode_16_64 3
		.amdhsa_dx10_clamp 1
		.amdhsa_ieee_mode 1
		.amdhsa_fp16_overflow 0
		.amdhsa_exception_fp_ieee_invalid_op 0
		.amdhsa_exception_fp_denorm_src 0
		.amdhsa_exception_fp_ieee_div_zero 0
		.amdhsa_exception_fp_ieee_overflow 0
		.amdhsa_exception_fp_ieee_underflow 0
		.amdhsa_exception_fp_ieee_inexact 0
		.amdhsa_exception_int_div_zero 0
	.end_amdhsa_kernel
	.text
.Lfunc_end6:
	.size	_ZN19hipPrintfStressTest18kernel_complex_opZEPjS0_j, .Lfunc_end6-_ZN19hipPrintfStressTest18kernel_complex_opZEPjS0_j
                                        ; -- End function
	.set _ZN19hipPrintfStressTest18kernel_complex_opZEPjS0_j.num_vgpr, max(6, .L_ZN19hipPrintfStressTest10startPrintEjjPjS0_.num_vgpr)
	.set _ZN19hipPrintfStressTest18kernel_complex_opZEPjS0_j.num_agpr, max(0, .L_ZN19hipPrintfStressTest10startPrintEjjPjS0_.num_agpr)
	.set _ZN19hipPrintfStressTest18kernel_complex_opZEPjS0_j.numbered_sgpr, max(33, .L_ZN19hipPrintfStressTest10startPrintEjjPjS0_.numbered_sgpr)
	.set _ZN19hipPrintfStressTest18kernel_complex_opZEPjS0_j.num_named_barrier, max(0, .L_ZN19hipPrintfStressTest10startPrintEjjPjS0_.num_named_barrier)
	.set _ZN19hipPrintfStressTest18kernel_complex_opZEPjS0_j.private_seg_size, 0+max(.L_ZN19hipPrintfStressTest10startPrintEjjPjS0_.private_seg_size)
	.set _ZN19hipPrintfStressTest18kernel_complex_opZEPjS0_j.uses_vcc, or(1, .L_ZN19hipPrintfStressTest10startPrintEjjPjS0_.uses_vcc)
	.set _ZN19hipPrintfStressTest18kernel_complex_opZEPjS0_j.uses_flat_scratch, or(0, .L_ZN19hipPrintfStressTest10startPrintEjjPjS0_.uses_flat_scratch)
	.set _ZN19hipPrintfStressTest18kernel_complex_opZEPjS0_j.has_dyn_sized_stack, or(0, .L_ZN19hipPrintfStressTest10startPrintEjjPjS0_.has_dyn_sized_stack)
	.set _ZN19hipPrintfStressTest18kernel_complex_opZEPjS0_j.has_recursion, or(0, .L_ZN19hipPrintfStressTest10startPrintEjjPjS0_.has_recursion)
	.set _ZN19hipPrintfStressTest18kernel_complex_opZEPjS0_j.has_indirect_call, or(0, .L_ZN19hipPrintfStressTest10startPrintEjjPjS0_.has_indirect_call)
	.section	.AMDGPU.csdata,"",@progbits
; Kernel info:
; codeLenInByte = 112
; TotalNumSgprs: 100
; NumVgprs: 58
; ScratchSize: 48
; MemoryBound: 0
; FloatMode: 240
; IeeeMode: 1
; LDSByteSize: 0 bytes/workgroup (compile time only)
; SGPRBlocks: 12
; VGPRBlocks: 14
; NumSGPRsForWavesPerEU: 100
; NumVGPRsForWavesPerEU: 58
; Occupancy: 4
; WaveLimiterHint : 1
; COMPUTE_PGM_RSRC2:SCRATCH_EN: 1
; COMPUTE_PGM_RSRC2:USER_SGPR: 6
; COMPUTE_PGM_RSRC2:TRAP_HANDLER: 0
; COMPUTE_PGM_RSRC2:TGID_X_EN: 1
; COMPUTE_PGM_RSRC2:TGID_Y_EN: 0
; COMPUTE_PGM_RSRC2:TGID_Z_EN: 1
; COMPUTE_PGM_RSRC2:TIDIG_COMP_CNT: 2
	.section	.AMDGPU.gpr_maximums,"",@progbits
	.set amdgpu.max_num_vgpr, 58
	.set amdgpu.max_num_agpr, 0
	.set amdgpu.max_num_sgpr, 96
	.section	.AMDGPU.csdata,"",@progbits
	.type	.str,@object                    ; @.str
	.section	.rodata.str1.1,"aMS",@progbits,1
.str:
	.asciz	"tid %u: Value of result=%u or %x\n"
	.size	.str, 34

	.type	.str.1,@object                  ; @.str.1
.str.1:
	.asciz	"tid %u: Value of result=%u or %x \n"
	.size	.str.1, 35

	.type	.str.2,@object                  ; @.str.2
.str.2:
	.asciz	"tid %u: Value of result=%d or %x\n"
	.size	.str.2, 34

	.type	.str.3,@object                  ; @.str.3
.str.3:
	.asciz	"tid %u: Value of result[%d] = %.2f or %.2e\n"
	.size	.str.3, 44

	.type	.str.4,@object                  ; @.str.4
.str.4:
	.asciz	"tid %u: Value of result[%d] = %.4f or %.4e \n"
	.size	.str.4, 45

	.type	.str.5,@object                  ; @.str.5
.str.5:
	.asciz	"tid %u: Value of result[%d] = %.6f or %.6e \n"
	.size	.str.5, 45

	.type	.str.6,@object                  ; @.str.6
.str.6:
	.asciz	"jhwehde2hl"
	.size	.str.6, 11

	.type	.str.7,@object                  ; @.str.7
.str.7:
	.asciz	"jhwehde2hlmc,prmlsl4"
	.size	.str.7, 21

	.type	.str.8,@object                  ; @.str.8
.str.8:
	.asciz	"xkdojdewnd34dMMnl2o4AAdeBEjbX0"
	.size	.str.8, 31

	.type	.str.9,@object                  ; @.str.9
.str.9:
	.asciz	"mcropkaA234dmelmfhja44ndalomkfokdMDFK328"
	.size	.str.9, 41

	.type	.str.10,@object                 ; @.str.10
.str.10:
	.asciz	"udnekc8939MDkdnjj3knsdlmnekdlgJNls328419i905409dfm"
	.size	.str.10, 51

	.type	.str.11,@object                 ; @.str.11
.str.11:
	.asciz	"lfjweknm4349u34sdlk09j3mAADDSDkeffe575675fdvfLKMWMORMFREKLkl"
	.size	.str.11, 61

	.type	.str.12,@object                 ; @.str.12
.str.12:
	.asciz	"tid %u: %s imod = %d \n"
	.size	.str.12, 23

	.type	.str.13,@object                 ; @.str.13
.str.13:
	.asciz	"jheku83290dnmnd##9u9BJKHFJLKsMMMMdkejwejjj232indnfdmsnndnsdn****bsXxZz"
	.size	.str.13, 71

	.type	.str.14,@object                 ; @.str.14
.str.14:
	.asciz	"%s,%d,%s,%u,%s,%x,%s,%f,%s,%e\n"
	.size	.str.14, 31

	.type	.str.15,@object                 ; @.str.15
.str.15:
	.asciz	"%f, %f, %e, %e \n"
	.size	.str.15, 17

	.type	.str.16,@object                 ; @.str.16
.str.16:
	.asciz	"%a, %a, %A, %A \n"
	.size	.str.16, 17

	.type	.str.17,@object                 ; @.str.17
.str.17:
	.asciz	"%zu, %zu, %lli, %lli, %llu, %llu, %li, %li, %lu, %lu\n"
	.size	.str.17, 54

	.type	.str.18,@object                 ; @.str.18
.str.18:
	.asciz	"%zx, %zx, %llx, %llx, %llx, %llx, %lx, %lx, %lx, %lx\n"
	.size	.str.18, 54

	.type	.str.19,@object                 ; @.str.19
.str.19:
	.asciz	"%zX, %zX, %llX, %llX, %llX, %llX, %lX, %lX, %lX, %lX\n"
	.size	.str.19, 54

	.type	.str.20,@object                 ; @.str.20
.str.20:
	.asciz	"%zo, %zo, %llo, %llo, %llo, %llo, %lo, %lo, %lo, %lo\n"
	.size	.str.20, 54

	.type	.str.21,@object                 ; @.str.21
.str.21:
	.asciz	"%hd, %hd, %hu, %hu, %hhd, %hhd, %hhu, %hhu, %d, %d, %u, %u\n"
	.size	.str.21, 60

	.type	.str.22,@object                 ; @.str.22
.str.22:
	.asciz	"%hx, %hx, %hx, %hx, %hhx, %hhx, %hhx, %hhx, %x, %x, %x, %x\n"
	.size	.str.22, 60

	.type	.str.23,@object                 ; @.str.23
.str.23:
	.asciz	"%hX, %hX, %hX, %hX, %hhX, %hhX, %hhX, %hhX, %X, %X, %X, %X\n"
	.size	.str.23, 60

	.type	.str.24,@object                 ; @.str.24
.str.24:
	.asciz	"%ho, %ho, %ho, %ho, %hho, %hho, %hho, %hho, %o, %o, %o, %o\n"
	.size	.str.24, 60

	.type	.str.25,@object                 ; @.str.25
.str.25:
	.asciz	"%c, %c, %c, %c\n"
	.size	.str.25, 16

	.type	__hip_cuid_af6e4a191111456e,@object ; @__hip_cuid_af6e4a191111456e
	.section	.bss,"aw",@nobits
	.globl	__hip_cuid_af6e4a191111456e
__hip_cuid_af6e4a191111456e:
	.byte	0                               ; 0x0
	.size	__hip_cuid_af6e4a191111456e, 1

	.ident	"AMD clang version 22.0.0git (https://github.com/RadeonOpenCompute/llvm-project roc-7.2.4 26084 f58b06dce1f9c15707c5f808fd002e18c2accf7e)"
	.section	".note.GNU-stack","",@progbits
	.addrsig
	.addrsig_sym __hip_cuid_af6e4a191111456e
	.amdgpu_metadata
---
amdhsa.kernels:
  - .args:
      - .address_space:  global
        .offset:         0
        .size:           8
        .value_kind:     global_buffer
      - .address_space:  global
        .offset:         8
        .size:           8
        .value_kind:     global_buffer
      - .offset:         16
        .size:           4
        .value_kind:     by_value
      - .offset:         24
        .size:           4
        .value_kind:     hidden_block_count_x
      - .offset:         28
        .size:           4
        .value_kind:     hidden_block_count_y
      - .offset:         32
        .size:           4
        .value_kind:     hidden_block_count_z
      - .offset:         36
        .size:           2
        .value_kind:     hidden_group_size_x
      - .offset:         38
        .size:           2
        .value_kind:     hidden_group_size_y
      - .offset:         40
        .size:           2
        .value_kind:     hidden_group_size_z
      - .offset:         42
        .size:           2
        .value_kind:     hidden_remainder_x
      - .offset:         44
        .size:           2
        .value_kind:     hidden_remainder_y
      - .offset:         46
        .size:           2
        .value_kind:     hidden_remainder_z
      - .offset:         64
        .size:           8
        .value_kind:     hidden_global_offset_x
      - .offset:         72
        .size:           8
        .value_kind:     hidden_global_offset_y
      - .offset:         80
        .size:           8
        .value_kind:     hidden_global_offset_z
      - .offset:         88
        .size:           2
        .value_kind:     hidden_grid_dims
      - .offset:         104
        .size:           8
        .value_kind:     hidden_hostcall_buffer
    .group_segment_fixed_size: 0
    .kernarg_segment_align: 8
    .kernarg_segment_size: 280
    .language:       OpenCL C
    .language_version:
      - 2
      - 0
    .max_flat_workgroup_size: 1024
    .name:           _ZN19hipPrintfStressTest18kernel_complex_opXEPjS0_j
    .private_segment_fixed_size: 48
    .sgpr_count:     100
    .sgpr_spill_count: 0
    .symbol:         _ZN19hipPrintfStressTest18kernel_complex_opXEPjS0_j.kd
    .uniform_work_group_size: 1
    .uses_dynamic_stack: false
    .vgpr_count:     58
    .vgpr_spill_count: 0
    .wavefront_size: 64
  - .args:
      - .address_space:  global
        .offset:         0
        .size:           8
        .value_kind:     global_buffer
      - .address_space:  global
        .offset:         8
        .size:           8
        .value_kind:     global_buffer
      - .offset:         16
        .size:           4
        .value_kind:     by_value
      - .offset:         24
        .size:           4
        .value_kind:     hidden_block_count_x
      - .offset:         28
        .size:           4
        .value_kind:     hidden_block_count_y
      - .offset:         32
        .size:           4
        .value_kind:     hidden_block_count_z
      - .offset:         36
        .size:           2
        .value_kind:     hidden_group_size_x
      - .offset:         38
        .size:           2
        .value_kind:     hidden_group_size_y
      - .offset:         40
        .size:           2
        .value_kind:     hidden_group_size_z
      - .offset:         42
        .size:           2
        .value_kind:     hidden_remainder_x
      - .offset:         44
        .size:           2
        .value_kind:     hidden_remainder_y
      - .offset:         46
        .size:           2
        .value_kind:     hidden_remainder_z
      - .offset:         64
        .size:           8
        .value_kind:     hidden_global_offset_x
      - .offset:         72
        .size:           8
        .value_kind:     hidden_global_offset_y
      - .offset:         80
        .size:           8
        .value_kind:     hidden_global_offset_z
      - .offset:         88
        .size:           2
        .value_kind:     hidden_grid_dims
      - .offset:         104
        .size:           8
        .value_kind:     hidden_hostcall_buffer
    .group_segment_fixed_size: 0
    .kernarg_segment_align: 8
    .kernarg_segment_size: 280
    .language:       OpenCL C
    .language_version:
      - 2
      - 0
    .max_flat_workgroup_size: 1024
    .name:           _ZN19hipPrintfStressTest18kernel_complex_opYEPjS0_j
    .private_segment_fixed_size: 48
    .sgpr_count:     100
    .sgpr_spill_count: 0
    .symbol:         _ZN19hipPrintfStressTest18kernel_complex_opYEPjS0_j.kd
    .uniform_work_group_size: 1
    .uses_dynamic_stack: false
    .vgpr_count:     58
    .vgpr_spill_count: 0
    .wavefront_size: 64
  - .args:
      - .address_space:  global
        .offset:         0
        .size:           8
        .value_kind:     global_buffer
      - .address_space:  global
        .offset:         8
        .size:           8
        .value_kind:     global_buffer
      - .offset:         16
        .size:           4
        .value_kind:     by_value
      - .offset:         24
        .size:           4
        .value_kind:     hidden_block_count_x
      - .offset:         28
        .size:           4
        .value_kind:     hidden_block_count_y
      - .offset:         32
        .size:           4
        .value_kind:     hidden_block_count_z
      - .offset:         36
        .size:           2
        .value_kind:     hidden_group_size_x
      - .offset:         38
        .size:           2
        .value_kind:     hidden_group_size_y
      - .offset:         40
        .size:           2
        .value_kind:     hidden_group_size_z
      - .offset:         42
        .size:           2
        .value_kind:     hidden_remainder_x
      - .offset:         44
        .size:           2
        .value_kind:     hidden_remainder_y
      - .offset:         46
        .size:           2
        .value_kind:     hidden_remainder_z
      - .offset:         64
        .size:           8
        .value_kind:     hidden_global_offset_x
      - .offset:         72
        .size:           8
        .value_kind:     hidden_global_offset_y
      - .offset:         80
        .size:           8
        .value_kind:     hidden_global_offset_z
      - .offset:         88
        .size:           2
        .value_kind:     hidden_grid_dims
      - .offset:         104
        .size:           8
        .value_kind:     hidden_hostcall_buffer
    .group_segment_fixed_size: 0
    .kernarg_segment_align: 8
    .kernarg_segment_size: 280
    .language:       OpenCL C
    .language_version:
      - 2
      - 0
    .max_flat_workgroup_size: 1024
    .name:           _ZN19hipPrintfStressTest18kernel_complex_opZEPjS0_j
    .private_segment_fixed_size: 48
    .sgpr_count:     100
    .sgpr_spill_count: 0
    .symbol:         _ZN19hipPrintfStressTest18kernel_complex_opZEPjS0_j.kd
    .uniform_work_group_size: 1
    .uses_dynamic_stack: false
    .vgpr_count:     58
    .vgpr_spill_count: 0
    .wavefront_size: 64
amdhsa.target:   amdgcn-amd-amdhsa--gfx906
amdhsa.version:
  - 1
  - 2
...

	.end_amdgpu_metadata
